;; amdgpu-corpus repo=ROCm/rocFFT kind=compiled arch=gfx1201 opt=O3
	.text
	.amdgcn_target "amdgcn-amd-amdhsa--gfx1201"
	.amdhsa_code_object_version 6
	.protected	fft_rtc_back_len1008_factors_2_2_2_2_3_3_7_wgs_56_tpt_56_halfLds_sp_op_CI_CI_sbrr_dirReg ; -- Begin function fft_rtc_back_len1008_factors_2_2_2_2_3_3_7_wgs_56_tpt_56_halfLds_sp_op_CI_CI_sbrr_dirReg
	.globl	fft_rtc_back_len1008_factors_2_2_2_2_3_3_7_wgs_56_tpt_56_halfLds_sp_op_CI_CI_sbrr_dirReg
	.p2align	8
	.type	fft_rtc_back_len1008_factors_2_2_2_2_3_3_7_wgs_56_tpt_56_halfLds_sp_op_CI_CI_sbrr_dirReg,@function
fft_rtc_back_len1008_factors_2_2_2_2_3_3_7_wgs_56_tpt_56_halfLds_sp_op_CI_CI_sbrr_dirReg: ; @fft_rtc_back_len1008_factors_2_2_2_2_3_3_7_wgs_56_tpt_56_halfLds_sp_op_CI_CI_sbrr_dirReg
; %bb.0:
	s_clause 0x2
	s_load_b128 s[12:15], s[0:1], 0x18
	s_load_b128 s[4:7], s[0:1], 0x0
	;; [unrolled: 1-line block ×3, first 2 shown]
	v_mul_u32_u24_e32 v1, 0x493, v0
	v_mov_b32_e32 v3, 0
	s_wait_kmcnt 0x0
	s_load_b64 s[18:19], s[12:13], 0x0
	s_load_b64 s[16:17], s[14:15], 0x0
	v_lshrrev_b32_e32 v1, 16, v1
	v_cmp_lt_u64_e64 s2, s[6:7], 2
	s_delay_alu instid0(VALU_DEP_2)
	v_add_nc_u32_e32 v5, ttmp9, v1
	v_mov_b32_e32 v1, 0
	v_mov_b32_e32 v2, 0
	;; [unrolled: 1-line block ×3, first 2 shown]
	s_and_b32 vcc_lo, exec_lo, s2
	s_cbranch_vccnz .LBB0_8
; %bb.1:
	s_load_b64 s[2:3], s[0:1], 0x10
	v_mov_b32_e32 v1, 0
	v_mov_b32_e32 v2, 0
	s_add_nc_u64 s[20:21], s[14:15], 8
	s_add_nc_u64 s[22:23], s[12:13], 8
	s_mov_b64 s[24:25], 1
	s_delay_alu instid0(VALU_DEP_1)
	v_dual_mov_b32 v25, v2 :: v_dual_mov_b32 v24, v1
	s_wait_kmcnt 0x0
	s_add_nc_u64 s[26:27], s[2:3], 8
	s_mov_b32 s3, 0
.LBB0_2:                                ; =>This Inner Loop Header: Depth=1
	s_load_b64 s[28:29], s[26:27], 0x0
                                        ; implicit-def: $vgpr26_vgpr27
	s_mov_b32 s2, exec_lo
	s_wait_kmcnt 0x0
	v_or_b32_e32 v4, s29, v6
	s_delay_alu instid0(VALU_DEP_1)
	v_cmpx_ne_u64_e32 0, v[3:4]
	s_wait_alu 0xfffe
	s_xor_b32 s30, exec_lo, s2
	s_cbranch_execz .LBB0_4
; %bb.3:                                ;   in Loop: Header=BB0_2 Depth=1
	s_cvt_f32_u32 s2, s28
	s_cvt_f32_u32 s31, s29
	s_sub_nc_u64 s[36:37], 0, s[28:29]
	s_wait_alu 0xfffe
	s_delay_alu instid0(SALU_CYCLE_1) | instskip(SKIP_1) | instid1(SALU_CYCLE_2)
	s_fmamk_f32 s2, s31, 0x4f800000, s2
	s_wait_alu 0xfffe
	v_s_rcp_f32 s2, s2
	s_delay_alu instid0(TRANS32_DEP_1) | instskip(SKIP_1) | instid1(SALU_CYCLE_2)
	s_mul_f32 s2, s2, 0x5f7ffffc
	s_wait_alu 0xfffe
	s_mul_f32 s31, s2, 0x2f800000
	s_wait_alu 0xfffe
	s_delay_alu instid0(SALU_CYCLE_2) | instskip(SKIP_1) | instid1(SALU_CYCLE_2)
	s_trunc_f32 s31, s31
	s_wait_alu 0xfffe
	s_fmamk_f32 s2, s31, 0xcf800000, s2
	s_cvt_u32_f32 s35, s31
	s_wait_alu 0xfffe
	s_delay_alu instid0(SALU_CYCLE_1) | instskip(SKIP_1) | instid1(SALU_CYCLE_2)
	s_cvt_u32_f32 s34, s2
	s_wait_alu 0xfffe
	s_mul_u64 s[38:39], s[36:37], s[34:35]
	s_wait_alu 0xfffe
	s_mul_hi_u32 s41, s34, s39
	s_mul_i32 s40, s34, s39
	s_mul_hi_u32 s2, s34, s38
	s_mul_i32 s33, s35, s38
	s_wait_alu 0xfffe
	s_add_nc_u64 s[40:41], s[2:3], s[40:41]
	s_mul_hi_u32 s31, s35, s38
	s_mul_hi_u32 s42, s35, s39
	s_add_co_u32 s2, s40, s33
	s_wait_alu 0xfffe
	s_add_co_ci_u32 s2, s41, s31
	s_mul_i32 s38, s35, s39
	s_add_co_ci_u32 s39, s42, 0
	s_wait_alu 0xfffe
	s_add_nc_u64 s[38:39], s[2:3], s[38:39]
	s_wait_alu 0xfffe
	v_add_co_u32 v4, s2, s34, s38
	s_delay_alu instid0(VALU_DEP_1) | instskip(SKIP_1) | instid1(VALU_DEP_1)
	s_cmp_lg_u32 s2, 0
	s_add_co_ci_u32 s35, s35, s39
	v_readfirstlane_b32 s34, v4
	s_wait_alu 0xfffe
	s_delay_alu instid0(VALU_DEP_1)
	s_mul_u64 s[36:37], s[36:37], s[34:35]
	s_wait_alu 0xfffe
	s_mul_hi_u32 s39, s34, s37
	s_mul_i32 s38, s34, s37
	s_mul_hi_u32 s2, s34, s36
	s_mul_i32 s33, s35, s36
	s_wait_alu 0xfffe
	s_add_nc_u64 s[38:39], s[2:3], s[38:39]
	s_mul_hi_u32 s31, s35, s36
	s_mul_hi_u32 s34, s35, s37
	s_wait_alu 0xfffe
	s_add_co_u32 s2, s38, s33
	s_add_co_ci_u32 s2, s39, s31
	s_mul_i32 s36, s35, s37
	s_add_co_ci_u32 s37, s34, 0
	s_wait_alu 0xfffe
	s_add_nc_u64 s[36:37], s[2:3], s[36:37]
	s_wait_alu 0xfffe
	v_add_co_u32 v4, s2, v4, s36
	s_delay_alu instid0(VALU_DEP_1) | instskip(SKIP_1) | instid1(VALU_DEP_1)
	s_cmp_lg_u32 s2, 0
	s_add_co_ci_u32 s2, s35, s37
	v_mul_hi_u32 v13, v5, v4
	s_wait_alu 0xfffe
	v_mad_co_u64_u32 v[7:8], null, v5, s2, 0
	v_mad_co_u64_u32 v[9:10], null, v6, v4, 0
	;; [unrolled: 1-line block ×3, first 2 shown]
	s_delay_alu instid0(VALU_DEP_3) | instskip(SKIP_1) | instid1(VALU_DEP_4)
	v_add_co_u32 v4, vcc_lo, v13, v7
	s_wait_alu 0xfffd
	v_add_co_ci_u32_e32 v7, vcc_lo, 0, v8, vcc_lo
	s_delay_alu instid0(VALU_DEP_2) | instskip(SKIP_1) | instid1(VALU_DEP_2)
	v_add_co_u32 v4, vcc_lo, v4, v9
	s_wait_alu 0xfffd
	v_add_co_ci_u32_e32 v4, vcc_lo, v7, v10, vcc_lo
	s_wait_alu 0xfffd
	v_add_co_ci_u32_e32 v7, vcc_lo, 0, v12, vcc_lo
	s_delay_alu instid0(VALU_DEP_2) | instskip(SKIP_1) | instid1(VALU_DEP_2)
	v_add_co_u32 v4, vcc_lo, v4, v11
	s_wait_alu 0xfffd
	v_add_co_ci_u32_e32 v9, vcc_lo, 0, v7, vcc_lo
	s_delay_alu instid0(VALU_DEP_2) | instskip(SKIP_1) | instid1(VALU_DEP_3)
	v_mul_lo_u32 v10, s29, v4
	v_mad_co_u64_u32 v[7:8], null, s28, v4, 0
	v_mul_lo_u32 v11, s28, v9
	s_delay_alu instid0(VALU_DEP_2) | instskip(NEXT) | instid1(VALU_DEP_2)
	v_sub_co_u32 v7, vcc_lo, v5, v7
	v_add3_u32 v8, v8, v11, v10
	s_delay_alu instid0(VALU_DEP_1) | instskip(SKIP_1) | instid1(VALU_DEP_1)
	v_sub_nc_u32_e32 v10, v6, v8
	s_wait_alu 0xfffd
	v_subrev_co_ci_u32_e64 v10, s2, s29, v10, vcc_lo
	v_add_co_u32 v11, s2, v4, 2
	s_wait_alu 0xf1ff
	v_add_co_ci_u32_e64 v12, s2, 0, v9, s2
	v_sub_co_u32 v13, s2, v7, s28
	v_sub_co_ci_u32_e32 v8, vcc_lo, v6, v8, vcc_lo
	s_wait_alu 0xf1ff
	v_subrev_co_ci_u32_e64 v10, s2, 0, v10, s2
	s_delay_alu instid0(VALU_DEP_3) | instskip(NEXT) | instid1(VALU_DEP_3)
	v_cmp_le_u32_e32 vcc_lo, s28, v13
	v_cmp_eq_u32_e64 s2, s29, v8
	s_wait_alu 0xfffd
	v_cndmask_b32_e64 v13, 0, -1, vcc_lo
	v_cmp_le_u32_e32 vcc_lo, s29, v10
	s_wait_alu 0xfffd
	v_cndmask_b32_e64 v14, 0, -1, vcc_lo
	v_cmp_le_u32_e32 vcc_lo, s28, v7
	;; [unrolled: 3-line block ×3, first 2 shown]
	s_wait_alu 0xfffd
	v_cndmask_b32_e64 v15, 0, -1, vcc_lo
	v_cmp_eq_u32_e32 vcc_lo, s29, v10
	s_wait_alu 0xf1ff
	s_delay_alu instid0(VALU_DEP_2)
	v_cndmask_b32_e64 v7, v15, v7, s2
	s_wait_alu 0xfffd
	v_cndmask_b32_e32 v10, v14, v13, vcc_lo
	v_add_co_u32 v13, vcc_lo, v4, 1
	s_wait_alu 0xfffd
	v_add_co_ci_u32_e32 v14, vcc_lo, 0, v9, vcc_lo
	s_delay_alu instid0(VALU_DEP_3) | instskip(SKIP_1) | instid1(VALU_DEP_2)
	v_cmp_ne_u32_e32 vcc_lo, 0, v10
	s_wait_alu 0xfffd
	v_cndmask_b32_e32 v8, v14, v12, vcc_lo
	v_cndmask_b32_e32 v10, v13, v11, vcc_lo
	v_cmp_ne_u32_e32 vcc_lo, 0, v7
	s_wait_alu 0xfffd
	s_delay_alu instid0(VALU_DEP_2)
	v_dual_cndmask_b32 v27, v9, v8 :: v_dual_cndmask_b32 v26, v4, v10
.LBB0_4:                                ;   in Loop: Header=BB0_2 Depth=1
	s_wait_alu 0xfffe
	s_and_not1_saveexec_b32 s2, s30
	s_cbranch_execz .LBB0_6
; %bb.5:                                ;   in Loop: Header=BB0_2 Depth=1
	v_cvt_f32_u32_e32 v4, s28
	s_sub_co_i32 s30, 0, s28
	v_mov_b32_e32 v27, v3
	s_delay_alu instid0(VALU_DEP_2) | instskip(NEXT) | instid1(TRANS32_DEP_1)
	v_rcp_iflag_f32_e32 v4, v4
	v_mul_f32_e32 v4, 0x4f7ffffe, v4
	s_delay_alu instid0(VALU_DEP_1) | instskip(SKIP_1) | instid1(VALU_DEP_1)
	v_cvt_u32_f32_e32 v4, v4
	s_wait_alu 0xfffe
	v_mul_lo_u32 v7, s30, v4
	s_delay_alu instid0(VALU_DEP_1) | instskip(NEXT) | instid1(VALU_DEP_1)
	v_mul_hi_u32 v7, v4, v7
	v_add_nc_u32_e32 v4, v4, v7
	s_delay_alu instid0(VALU_DEP_1) | instskip(NEXT) | instid1(VALU_DEP_1)
	v_mul_hi_u32 v4, v5, v4
	v_mul_lo_u32 v7, v4, s28
	v_add_nc_u32_e32 v8, 1, v4
	s_delay_alu instid0(VALU_DEP_2) | instskip(NEXT) | instid1(VALU_DEP_1)
	v_sub_nc_u32_e32 v7, v5, v7
	v_subrev_nc_u32_e32 v9, s28, v7
	v_cmp_le_u32_e32 vcc_lo, s28, v7
	s_wait_alu 0xfffd
	s_delay_alu instid0(VALU_DEP_2) | instskip(NEXT) | instid1(VALU_DEP_1)
	v_dual_cndmask_b32 v7, v7, v9 :: v_dual_cndmask_b32 v4, v4, v8
	v_cmp_le_u32_e32 vcc_lo, s28, v7
	s_delay_alu instid0(VALU_DEP_2) | instskip(SKIP_1) | instid1(VALU_DEP_1)
	v_add_nc_u32_e32 v8, 1, v4
	s_wait_alu 0xfffd
	v_cndmask_b32_e32 v26, v4, v8, vcc_lo
.LBB0_6:                                ;   in Loop: Header=BB0_2 Depth=1
	s_wait_alu 0xfffe
	s_or_b32 exec_lo, exec_lo, s2
	v_mul_lo_u32 v4, v27, s28
	s_delay_alu instid0(VALU_DEP_2)
	v_mul_lo_u32 v9, v26, s29
	s_load_b64 s[30:31], s[22:23], 0x0
	v_mad_co_u64_u32 v[7:8], null, v26, s28, 0
	s_load_b64 s[28:29], s[20:21], 0x0
	s_add_nc_u64 s[24:25], s[24:25], 1
	s_add_nc_u64 s[20:21], s[20:21], 8
	s_wait_alu 0xfffe
	v_cmp_ge_u64_e64 s2, s[24:25], s[6:7]
	s_add_nc_u64 s[22:23], s[22:23], 8
	s_add_nc_u64 s[26:27], s[26:27], 8
	v_add3_u32 v4, v8, v9, v4
	v_sub_co_u32 v5, vcc_lo, v5, v7
	s_wait_alu 0xfffd
	s_delay_alu instid0(VALU_DEP_2) | instskip(SKIP_2) | instid1(VALU_DEP_1)
	v_sub_co_ci_u32_e32 v4, vcc_lo, v6, v4, vcc_lo
	s_and_b32 vcc_lo, exec_lo, s2
	s_wait_kmcnt 0x0
	v_mul_lo_u32 v6, s30, v4
	v_mul_lo_u32 v7, s31, v5
	v_mad_co_u64_u32 v[1:2], null, s30, v5, v[1:2]
	v_mul_lo_u32 v4, s28, v4
	v_mul_lo_u32 v8, s29, v5
	v_mad_co_u64_u32 v[24:25], null, s28, v5, v[24:25]
	s_delay_alu instid0(VALU_DEP_4) | instskip(NEXT) | instid1(VALU_DEP_2)
	v_add3_u32 v2, v7, v2, v6
	v_add3_u32 v25, v8, v25, v4
	s_wait_alu 0xfffe
	s_cbranch_vccnz .LBB0_9
; %bb.7:                                ;   in Loop: Header=BB0_2 Depth=1
	v_dual_mov_b32 v5, v26 :: v_dual_mov_b32 v6, v27
	s_branch .LBB0_2
.LBB0_8:
	s_delay_alu instid0(VALU_DEP_2) | instskip(NEXT) | instid1(VALU_DEP_2)
	v_dual_mov_b32 v25, v2 :: v_dual_mov_b32 v24, v1
	v_dual_mov_b32 v27, v6 :: v_dual_mov_b32 v26, v5
.LBB0_9:
	s_load_b64 s[0:1], s[0:1], 0x28
	v_mul_hi_u32 v7, 0x4924925, v0
	s_lshl_b64 s[6:7], s[6:7], 3
                                        ; implicit-def: $sgpr2_sgpr3
                                        ; implicit-def: $vgpr56
                                        ; implicit-def: $vgpr54
                                        ; implicit-def: $vgpr57
                                        ; implicit-def: $vgpr44
                                        ; implicit-def: $vgpr45
                                        ; implicit-def: $vgpr46
                                        ; implicit-def: $vgpr23
                                        ; implicit-def: $vgpr51
                                        ; implicit-def: $vgpr52
	s_wait_kmcnt 0x0
	v_cmp_gt_u64_e32 vcc_lo, s[0:1], v[26:27]
	v_cmp_le_u64_e64 s0, s[0:1], v[26:27]
	s_delay_alu instid0(VALU_DEP_1)
	s_and_saveexec_b32 s1, s0
	s_wait_alu 0xfffe
	s_xor_b32 s0, exec_lo, s1
; %bb.10:
	v_mul_u32_u24_e32 v1, 56, v7
	s_mov_b64 s[2:3], 0
                                        ; implicit-def: $vgpr7
	s_delay_alu instid0(VALU_DEP_1) | instskip(NEXT) | instid1(VALU_DEP_1)
	v_sub_nc_u32_e32 v56, v0, v1
                                        ; implicit-def: $vgpr0
                                        ; implicit-def: $vgpr1_vgpr2
	v_add_nc_u32_e32 v54, 56, v56
	v_add_nc_u32_e32 v57, 0x70, v56
	v_add_nc_u32_e32 v44, 0xa8, v56
	v_add_nc_u32_e32 v45, 0xe0, v56
	v_add_nc_u32_e32 v46, 0x118, v56
	v_add_nc_u32_e32 v23, 0x150, v56
	v_add_nc_u32_e32 v51, 0x188, v56
	v_or_b32_e32 v52, 0x1c0, v56
; %bb.11:
	s_wait_alu 0xfffe
	s_or_saveexec_b32 s1, s0
	v_dual_mov_b32 v4, s3 :: v_dual_mov_b32 v3, s2
	v_dual_mov_b32 v6, s3 :: v_dual_mov_b32 v5, s2
	v_dual_mov_b32 v14, s3 :: v_dual_mov_b32 v13, s2
	v_dual_mov_b32 v12, s3 :: v_dual_mov_b32 v11, s2
	v_dual_mov_b32 v20, s3 :: v_dual_mov_b32 v19, s2
	v_dual_mov_b32 v22, s3 :: v_dual_mov_b32 v21, s2
	v_dual_mov_b32 v33, s3 :: v_dual_mov_b32 v32, s2
	v_dual_mov_b32 v35, s3 :: v_dual_mov_b32 v34, s2
	v_dual_mov_b32 v37, s3 :: v_dual_mov_b32 v36, s2
	s_add_nc_u64 s[2:3], s[14:15], s[6:7]
                                        ; implicit-def: $vgpr8
                                        ; implicit-def: $vgpr16
                                        ; implicit-def: $vgpr31
                                        ; implicit-def: $vgpr29
                                        ; implicit-def: $vgpr39
                                        ; implicit-def: $vgpr41
                                        ; implicit-def: $vgpr43
                                        ; implicit-def: $vgpr18
                                        ; implicit-def: $vgpr10
	s_wait_alu 0xfffe
	s_xor_b32 exec_lo, exec_lo, s1
	s_cbranch_execz .LBB0_13
; %bb.12:
	s_add_nc_u64 s[6:7], s[12:13], s[6:7]
	v_mul_u32_u24_e32 v3, 56, v7
	s_load_b64 s[6:7], s[6:7], 0x0
	v_lshlrev_b64_e32 v[1:2], 3, v[1:2]
	s_delay_alu instid0(VALU_DEP_2) | instskip(NEXT) | instid1(VALU_DEP_1)
	v_sub_nc_u32_e32 v56, v0, v3
	v_mad_co_u64_u32 v[3:4], null, s18, v56, 0
	v_add_nc_u32_e32 v15, 0x1f8, v56
	v_add_nc_u32_e32 v54, 56, v56
	;; [unrolled: 1-line block ×6, first 2 shown]
	v_mov_b32_e32 v0, v4
	v_mad_co_u64_u32 v[5:6], null, s18, v15, 0
	v_add_nc_u32_e32 v17, 0x230, v56
	s_wait_kmcnt 0x0
	v_mul_lo_u32 v4, s7, v26
	v_mul_lo_u32 v16, s6, v27
	v_mad_co_u64_u32 v[11:12], null, s6, v26, 0
	v_mad_co_u64_u32 v[7:8], null, s18, v54, 0
	;; [unrolled: 1-line block ×3, first 2 shown]
	v_mov_b32_e32 v0, v6
	v_mad_co_u64_u32 v[9:10], null, s18, v17, 0
	v_add3_u32 v12, v12, v16, v4
	v_dual_mov_b32 v6, v8 :: v_dual_add_nc_u32 v57, 0x70, v56
	s_delay_alu instid0(VALU_DEP_4) | instskip(SKIP_4) | instid1(VALU_DEP_3)
	v_mad_co_u64_u32 v[14:15], null, s19, v15, v[0:1]
	v_mov_b32_e32 v4, v13
	v_dual_mov_b32 v8, v10 :: v_dual_add_nc_u32 v19, 0x268, v56
	v_lshlrev_b64_e32 v[10:11], 3, v[11:12]
	v_mad_co_u64_u32 v[15:16], null, s19, v54, v[6:7]
	v_mad_co_u64_u32 v[12:13], null, s19, v17, v[8:9]
	v_lshlrev_b64_e32 v[3:4], 3, v[3:4]
	s_delay_alu instid0(VALU_DEP_4) | instskip(SKIP_3) | instid1(VALU_DEP_3)
	v_add_co_u32 v0, s0, s8, v10
	s_wait_alu 0xf1ff
	v_add_co_ci_u32_e64 v10, s0, s9, v11, s0
	v_dual_mov_b32 v6, v14 :: v_dual_add_nc_u32 v45, 0xe0, v56
	v_add_co_u32 v53, s0, v0, v1
	s_wait_alu 0xf1ff
	s_delay_alu instid0(VALU_DEP_3)
	v_add_co_ci_u32_e64 v55, s0, v10, v2, s0
	v_mov_b32_e32 v10, v12
	v_mad_co_u64_u32 v[11:12], null, s18, v57, 0
	v_dual_mov_b32 v8, v15 :: v_dual_add_nc_u32 v23, 0x2d8, v56
	v_lshlrev_b64_e32 v[0:1], 3, v[5:6]
	v_add_co_u32 v2, s0, v53, v3
	s_wait_alu 0xf1ff
	v_add_co_ci_u32_e64 v3, s0, v55, v4, s0
	v_lshlrev_b64_e32 v[4:5], 3, v[7:8]
	v_mad_co_u64_u32 v[13:14], null, s18, v19, 0
	v_mad_co_u64_u32 v[15:16], null, s18, v44, 0
	;; [unrolled: 1-line block ×3, first 2 shown]
	v_mov_b32_e32 v8, v12
	v_add_co_u32 v0, s0, v53, v0
	v_lshlrev_b64_e32 v[6:7], 3, v[9:10]
	s_wait_alu 0xf1ff
	v_add_co_ci_u32_e64 v1, s0, v55, v1, s0
	v_mad_co_u64_u32 v[8:9], null, s19, v57, v[8:9]
	v_add_co_u32 v9, s0, v53, v4
	s_wait_alu 0xf1ff
	v_add_co_ci_u32_e64 v10, s0, v55, v5, s0
	v_dual_mov_b32 v4, v14 :: v_dual_mov_b32 v5, v16
	v_add_co_u32 v17, s0, v53, v6
	s_wait_alu 0xf1ff
	v_add_co_ci_u32_e64 v18, s0, v55, v7, s0
	s_delay_alu instid0(VALU_DEP_3)
	v_mad_co_u64_u32 v[19:20], null, s19, v19, v[4:5]
	v_mov_b32_e32 v12, v8
	v_mad_co_u64_u32 v[20:21], null, s19, v44, v[5:6]
	s_clause 0x3
	global_load_b64 v[3:4], v[2:3], off
	global_load_b64 v[7:8], v[0:1], off
	;; [unrolled: 1-line block ×4, first 2 shown]
	v_add_nc_u32_e32 v21, 0x2a0, v56
	v_lshlrev_b64_e32 v[0:1], 3, v[11:12]
	v_dual_mov_b32 v14, v19 :: v_dual_add_nc_u32 v51, 0x188, v56
	v_mad_co_u64_u32 v[32:33], null, s18, v46, 0
	s_delay_alu instid0(VALU_DEP_4)
	v_mad_co_u64_u32 v[11:12], null, s18, v21, 0
	v_mov_b32_e32 v16, v20
	v_mad_co_u64_u32 v[19:20], null, s18, v45, 0
	v_lshlrev_b64_e32 v[13:14], 3, v[13:14]
	v_add_co_u32 v0, s0, v53, v0
	v_mov_b32_e32 v2, v12
	s_wait_alu 0xf1ff
	v_add_co_ci_u32_e64 v1, s0, v55, v1, s0
	s_delay_alu instid0(VALU_DEP_4)
	v_add_co_u32 v28, s0, v53, v13
	v_lshlrev_b64_e32 v[15:16], 3, v[15:16]
	s_wait_alu 0xf1ff
	v_add_co_ci_u32_e64 v29, s0, v55, v14, s0
	v_mad_co_u64_u32 v[38:39], null, s18, v51, 0
	v_or_b32_e32 v43, 0x380, v56
	s_delay_alu instid0(VALU_DEP_4)
	v_add_co_u32 v15, s0, v53, v15
	s_wait_alu 0xf1ff
	v_add_co_ci_u32_e64 v16, s0, v55, v16, s0
	v_or_b32_e32 v52, 0x1c0, v56
	s_wait_loadcnt 0x3
	v_mad_co_u64_u32 v[17:18], null, s19, v21, v[2:3]
	v_mad_co_u64_u32 v[21:22], null, s18, v23, 0
	v_mov_b32_e32 v2, v20
	s_delay_alu instid0(VALU_DEP_3) | instskip(NEXT) | instid1(VALU_DEP_2)
	v_mov_b32_e32 v12, v17
	v_mad_co_u64_u32 v[17:18], null, s19, v45, v[2:3]
	s_delay_alu instid0(VALU_DEP_4) | instskip(NEXT) | instid1(VALU_DEP_3)
	v_dual_mov_b32 v13, v22 :: v_dual_mov_b32 v2, v33
	v_lshlrev_b64_e32 v[11:12], 3, v[11:12]
	s_delay_alu instid0(VALU_DEP_2) | instskip(NEXT) | instid1(VALU_DEP_4)
	v_mad_co_u64_u32 v[13:14], null, s19, v23, v[13:14]
	v_mov_b32_e32 v20, v17
	s_delay_alu instid0(VALU_DEP_3) | instskip(SKIP_1) | instid1(VALU_DEP_4)
	v_add_co_u32 v30, s0, v53, v11
	s_wait_alu 0xf1ff
	v_add_co_ci_u32_e64 v31, s0, v55, v12, s0
	s_delay_alu instid0(VALU_DEP_4)
	v_dual_mov_b32 v22, v13 :: v_dual_add_nc_u32 v23, 0x150, v56
	s_clause 0x3
	global_load_b64 v[13:14], v[0:1], off
	global_load_b64 v[17:18], v[28:29], off
	;; [unrolled: 1-line block ×4, first 2 shown]
	v_lshlrev_b64_e32 v[0:1], 3, v[19:20]
	v_mad_co_u64_u32 v[28:29], null, s19, v46, v[2:3]
	v_lshlrev_b64_e32 v[19:20], 3, v[21:22]
	v_mov_b32_e32 v21, v35
	s_delay_alu instid0(VALU_DEP_4) | instskip(SKIP_2) | instid1(VALU_DEP_3)
	v_add_co_u32 v0, s0, v53, v0
	s_wait_alu 0xf1ff
	v_add_co_ci_u32_e64 v1, s0, v55, v1, s0
	v_mad_co_u64_u32 v[21:22], null, s19, v36, v[21:22]
	v_mad_co_u64_u32 v[36:37], null, s18, v23, 0
	v_mov_b32_e32 v33, v28
	s_delay_alu instid0(VALU_DEP_3) | instskip(SKIP_1) | instid1(VALU_DEP_4)
	v_mov_b32_e32 v35, v21
	v_add_co_u32 v21, s0, v53, v19
	v_mov_b32_e32 v2, v37
	s_wait_alu 0xf1ff
	v_add_co_ci_u32_e64 v22, s0, v55, v20, s0
	v_lshlrev_b64_e32 v[19:20], 3, v[32:33]
	v_mad_co_u64_u32 v[32:33], null, s18, v40, 0
	v_mad_co_u64_u32 v[30:31], null, s19, v23, v[2:3]
	v_lshlrev_b64_e32 v[28:29], 3, v[34:35]
	s_delay_alu instid0(VALU_DEP_4) | instskip(SKIP_2) | instid1(VALU_DEP_4)
	v_add_co_u32 v34, s0, v53, v19
	s_wait_alu 0xf1ff
	v_add_co_ci_u32_e64 v35, s0, v55, v20, s0
	v_dual_mov_b32 v2, v33 :: v_dual_mov_b32 v37, v30
	s_delay_alu instid0(VALU_DEP_4) | instskip(SKIP_2) | instid1(VALU_DEP_3)
	v_add_co_u32 v28, s0, v53, v28
	s_wait_alu 0xf1ff
	v_add_co_ci_u32_e64 v29, s0, v55, v29, s0
	v_mad_co_u64_u32 v[40:41], null, s19, v40, v[2:3]
	v_mad_co_u64_u32 v[41:42], null, s18, v43, 0
	s_clause 0x3
	global_load_b64 v[19:20], v[0:1], off
	global_load_b64 v[30:31], v[21:22], off
	;; [unrolled: 1-line block ×4, first 2 shown]
	v_lshlrev_b64_e32 v[1:2], 3, v[36:37]
	v_dual_mov_b32 v0, v39 :: v_dual_mov_b32 v33, v40
	v_add_nc_u32_e32 v40, 0x3b8, v56
	s_delay_alu instid0(VALU_DEP_2) | instskip(SKIP_2) | instid1(VALU_DEP_4)
	v_mad_co_u64_u32 v[34:35], null, s19, v51, v[0:1]
	v_mad_co_u64_u32 v[35:36], null, s18, v52, 0
	v_mov_b32_e32 v0, v42
	v_mad_co_u64_u32 v[47:48], null, s18, v40, 0
	v_lshlrev_b64_e32 v[32:33], 3, v[32:33]
	v_mov_b32_e32 v39, v34
	s_delay_alu instid0(VALU_DEP_4)
	v_mad_co_u64_u32 v[42:43], null, s19, v43, v[0:1]
	v_add_co_u32 v0, s0, v53, v1
	s_wait_alu 0xf1ff
	v_add_co_ci_u32_e64 v1, s0, v55, v2, s0
	v_mov_b32_e32 v2, v36
	v_add_co_u32 v49, s0, v53, v32
	s_wait_alu 0xf1ff
	v_add_co_ci_u32_e64 v50, s0, v55, v33, s0
	s_delay_alu instid0(VALU_DEP_3) | instskip(SKIP_2) | instid1(VALU_DEP_2)
	v_mad_co_u64_u32 v[36:37], null, s19, v52, v[2:3]
	v_mov_b32_e32 v2, v48
	v_lshlrev_b64_e32 v[32:33], 3, v[38:39]
	v_mad_co_u64_u32 v[37:38], null, s19, v40, v[2:3]
	v_lshlrev_b64_e32 v[38:39], 3, v[41:42]
	s_delay_alu instid0(VALU_DEP_3) | instskip(SKIP_1) | instid1(VALU_DEP_4)
	v_add_co_u32 v40, s0, v53, v32
	s_wait_alu 0xf1ff
	v_add_co_ci_u32_e64 v41, s0, v55, v33, s0
	v_lshlrev_b64_e32 v[32:33], 3, v[35:36]
	v_mov_b32_e32 v48, v37
	v_add_co_u32 v36, s0, v53, v38
	s_wait_alu 0xf1ff
	v_add_co_ci_u32_e64 v37, s0, v55, v39, s0
	s_delay_alu instid0(VALU_DEP_3) | instskip(SKIP_3) | instid1(VALU_DEP_3)
	v_lshlrev_b64_e32 v[34:35], 3, v[47:48]
	v_add_co_u32 v47, s0, v53, v32
	s_wait_alu 0xf1ff
	v_add_co_ci_u32_e64 v48, s0, v55, v33, s0
	v_add_co_u32 v58, s0, v53, v34
	s_wait_alu 0xf1ff
	v_add_co_ci_u32_e64 v59, s0, v55, v35, s0
	s_clause 0x5
	global_load_b64 v[32:33], v[0:1], off
	global_load_b64 v[42:43], v[49:50], off
	;; [unrolled: 1-line block ×6, first 2 shown]
.LBB0_13:
	s_or_b32 exec_lo, exec_lo, s1
	s_wait_loadcnt 0x10
	v_dual_sub_f32 v1, v3, v7 :: v_dual_sub_f32 v8, v4, v8
	s_wait_loadcnt 0xa
	v_dual_sub_f32 v48, v5, v9 :: v_dual_sub_f32 v15, v11, v15
	s_wait_loadcnt 0x6
	v_sub_f32_e32 v61, v22, v29
	v_fma_f32 v0, v3, 2.0, -v1
	v_sub_f32_e32 v3, v6, v10
	v_fma_f32 v47, v5, 2.0, -v48
	v_dual_sub_f32 v5, v13, v17 :: v_dual_sub_f32 v10, v14, v18
	v_fma_f32 v7, v4, 2.0, -v8
	v_sub_f32_e32 v17, v12, v16
	s_wait_loadcnt 0x0
	v_sub_f32_e32 v50, v36, v40
	v_fma_f32 v4, v13, 2.0, -v5
	v_sub_f32_e32 v13, v19, v30
	v_fma_f32 v2, v6, 2.0, -v3
	v_lshl_add_u32 v6, v56, 3, 0
	v_fma_f32 v16, v12, 2.0, -v17
	v_lshl_add_u32 v40, v57, 3, 0
	v_fma_f32 v12, v19, 2.0, -v13
	v_sub_f32_e32 v19, v32, v42
	v_lshl_add_u32 v42, v54, 3, 0
	v_fma_f32 v9, v14, 2.0, -v10
	v_sub_f32_e32 v30, v21, v28
	v_fma_f32 v14, v11, 2.0, -v15
	v_fma_f32 v60, v22, 2.0, -v61
	v_lshl_add_u32 v22, v44, 3, 0
	v_fma_f32 v49, v36, 2.0, -v50
	v_lshl_add_u32 v36, v45, 3, 0
	s_load_b64 s[2:3], s[2:3], 0x0
	v_sub_f32_e32 v59, v20, v31
	ds_store_b64 v6, v[0:1]
	ds_store_b64 v42, v[47:48]
	ds_store_b64 v40, v[4:5]
	ds_store_b64 v22, v[14:15]
	ds_store_b64 v36, v[12:13]
	v_lshlrev_b32_e32 v0, 2, v56
	v_fma_f32 v29, v21, 2.0, -v30
	v_sub_f32_e32 v21, v33, v43
	v_dual_sub_f32 v63, v37, v41 :: v_dual_lshlrev_b32 v28, 2, v51
	s_delay_alu instid0(VALU_DEP_4)
	v_sub_nc_u32_e32 v43, v6, v0
	v_lshlrev_b32_e32 v0, 2, v44
	v_fma_f32 v18, v32, 2.0, -v19
	v_sub_f32_e32 v32, v34, v38
	v_lshl_add_u32 v4, v46, 3, 0
	v_lshl_add_u32 v15, v51, 3, 0
	v_fma_f32 v62, v37, 2.0, -v63
	v_lshl_add_u32 v5, v23, 3, 0
	v_fma_f32 v31, v34, 2.0, -v32
	v_lshl_add_u32 v37, v52, 3, 0
	ds_store_b64 v4, v[29:30]
	ds_store_b64 v5, v[18:19]
	;; [unrolled: 1-line block ×4, first 2 shown]
	v_add_nc_u32_e32 v49, 0x800, v43
	v_add_nc_u32_e32 v48, 0x600, v43
	global_wb scope:SCOPE_SE
	s_wait_dscnt 0x0
	s_wait_kmcnt 0x0
	s_barrier_signal -1
	s_barrier_wait -1
	global_inv scope:SCOPE_SE
	ds_load_b32 v53, v43
	ds_load_2addr_b32 v[11:12], v48 offset0:120 offset1:176
	ds_load_2addr_b32 v[13:14], v49 offset0:104 offset1:160
	v_lshlrev_b32_e32 v1, 2, v45
	v_sub_nc_u32_e32 v31, v22, v0
	v_dual_sub_f32 v39, v35, v39 :: v_dual_lshlrev_b32 v0, 2, v46
	v_fma_f32 v58, v20, 2.0, -v59
	s_delay_alu instid0(VALU_DEP_4)
	v_sub_nc_u32_e32 v32, v36, v1
	v_lshlrev_b32_e32 v1, 2, v23
	v_fma_f32 v20, v33, 2.0, -v21
	v_lshlrev_b32_e32 v41, 2, v54
	v_lshlrev_b32_e32 v47, 2, v57
	v_add_nc_u32_e32 v33, 0xa00, v43
	v_lshlrev_b32_e32 v29, 2, v52
	v_sub_nc_u32_e32 v34, v4, v0
	v_fma_f32 v38, v35, 2.0, -v39
	v_sub_nc_u32_e32 v35, v5, v1
	v_add_nc_u32_e32 v55, 0xc00, v43
	v_sub_nc_u32_e32 v50, v42, v41
	v_sub_nc_u32_e32 v30, v40, v47
	ds_load_2addr_b32 v[18:19], v33 offset0:88 offset1:144
	v_sub_nc_u32_e32 v0, v15, v28
	v_sub_nc_u32_e32 v1, v37, v29
	ds_load_b32 v64, v31
	ds_load_b32 v65, v32
	;; [unrolled: 1-line block ×4, first 2 shown]
	ds_load_2addr_b32 v[28:29], v55 offset0:72 offset1:128
	ds_load_b32 v68, v0
	ds_load_b32 v69, v1
	;; [unrolled: 1-line block ×4, first 2 shown]
	ds_load_b32 v72, v43 offset:3808
	global_wb scope:SCOPE_SE
	s_wait_dscnt 0x0
	s_barrier_signal -1
	s_barrier_wait -1
	global_inv scope:SCOPE_SE
	ds_store_b64 v6, v[7:8]
	ds_store_b64 v42, v[2:3]
	;; [unrolled: 1-line block ×5, first 2 shown]
	v_and_b32_e32 v17, 1, v56
	v_cmp_gt_u32_e64 s0, 48, v56
	s_delay_alu instid0(VALU_DEP_2)
	v_lshlrev_b32_e32 v2, 3, v17
	ds_store_b64 v4, v[60:61]
	ds_store_b64 v5, v[20:21]
	ds_store_b64 v15, v[38:39]
	ds_store_b64 v37, v[62:63]
	global_wb scope:SCOPE_SE
	s_wait_dscnt 0x0
	s_barrier_signal -1
	s_barrier_wait -1
	global_inv scope:SCOPE_SE
	global_load_b64 v[15:16], v2, s[4:5]
	v_lshlrev_b32_e32 v2, 1, v56
	v_lshlrev_b32_e32 v3, 1, v54
	;; [unrolled: 1-line block ×5, first 2 shown]
	v_and_or_b32 v20, 0x7c, v2, v17
	v_and_or_b32 v21, 0xfc, v3, v17
	v_lshlrev_b32_e32 v8, 1, v23
	v_lshlrev_b32_e32 v10, 1, v52
	v_and_or_b32 v23, 0x1fc, v5, v17
	v_lshl_add_u32 v58, v20, 2, 0
	v_lshl_add_u32 v59, v21, 2, 0
	ds_load_2addr_b32 v[20:21], v48 offset0:120 offset1:176
	v_lshlrev_b32_e32 v4, 1, v57
	v_and_or_b32 v37, 0x2fc, v7, v17
	v_and_or_b32 v38, 0x3fc, v8, v17
	v_lshl_add_u32 v61, v23, 2, 0
	s_delay_alu instid0(VALU_DEP_3) | instskip(NEXT) | instid1(VALU_DEP_3)
	v_lshl_add_u32 v63, v37, 2, 0
	v_lshl_add_u32 v73, v38, 2, 0
	s_wait_loadcnt_dscnt 0x0
	v_mul_f32_e32 v85, v20, v16
	v_and_or_b32 v22, 0x1fc, v4, v17
	v_mul_f32_e32 v87, v11, v16
	v_and_or_b32 v36, 0x3fc, v6, v17
	s_delay_alu instid0(VALU_DEP_4) | instskip(SKIP_2) | instid1(VALU_DEP_4)
	v_dual_mul_f32 v88, v12, v16 :: v_dual_fmac_f32 v85, v11, v15
	v_lshlrev_b32_e32 v9, 1, v51
	v_lshl_add_u32 v60, v22, 2, 0
	v_lshl_add_u32 v62, v36, 2, 0
	v_mul_f32_e32 v86, v21, v16
	v_fma_f32 v21, v21, v15, -v88
	v_and_or_b32 v39, 0x3fc, v9, v17
	v_and_or_b32 v17, 0x3fc, v10, v17
	v_mul_f32_e32 v88, v28, v16
	v_fmac_f32_e32 v86, v12, v15
	v_mul_f32_e32 v92, v14, v16
	v_lshl_add_u32 v74, v39, 2, 0
	v_lshl_add_u32 v75, v17, 2, 0
	ds_load_b32 v17, v43
	ds_load_2addr_b32 v[22:23], v49 offset0:104 offset1:160
	ds_load_2addr_b32 v[36:37], v33 offset0:88 offset1:144
	ds_load_b32 v76, v31
	ds_load_b32 v77, v32
	;; [unrolled: 1-line block ×4, first 2 shown]
	ds_load_2addr_b32 v[38:39], v55 offset0:72 offset1:128
	ds_load_b32 v80, v0
	ds_load_b32 v81, v1
	ds_load_b32 v82, v30
	ds_load_b32 v83, v50
	ds_load_b32 v84, v43 offset:3808
	v_mul_f32_e32 v91, v13, v16
	v_fma_f32 v20, v20, v15, -v87
	global_wb scope:SCOPE_SE
	s_wait_dscnt 0x0
	s_barrier_signal -1
	s_barrier_wait -1
	global_inv scope:SCOPE_SE
	v_sub_f32_e32 v20, v17, v20
	v_mul_f32_e32 v90, v23, v16
	v_mul_f32_e32 v89, v22, v16
	;; [unrolled: 1-line block ×4, first 2 shown]
	v_fma_f32 v22, v22, v15, -v91
	v_fmac_f32_e32 v90, v14, v15
	v_mul_f32_e32 v12, v38, v16
	v_and_b32_e32 v51, 3, v56
	v_fmac_f32_e32 v89, v13, v15
	v_dual_fmac_f32 v94, v19, v15 :: v_dual_mul_f32 v13, v29, v16
	v_mul_f32_e32 v14, v84, v16
	v_dual_mul_f32 v95, v18, v16 :: v_dual_fmac_f32 v12, v28, v15
	v_lshlrev_b32_e32 v52, 3, v51
	v_dual_sub_f32 v28, v71, v86 :: v_dual_fmac_f32 v93, v18, v15
	s_delay_alu instid0(VALU_DEP_4) | instskip(NEXT) | instid1(VALU_DEP_4)
	v_fmac_f32_e32 v14, v72, v15
	v_fma_f32 v18, v36, v15, -v95
	v_dual_mul_f32 v11, v19, v16 :: v_dual_sub_f32 v22, v82, v22
	v_dual_mul_f32 v87, v39, v16 :: v_dual_sub_f32 v36, v64, v90
	v_mul_f32_e32 v16, v72, v16
	v_fma_f32 v19, v38, v15, -v88
	v_dual_sub_f32 v21, v83, v21 :: v_dual_sub_f32 v38, v77, v18
	v_sub_f32_e32 v18, v66, v94
	v_fma_f32 v13, v39, v15, -v13
	v_fma_f32 v23, v23, v15, -v92
	;; [unrolled: 1-line block ×3, first 2 shown]
	v_fmac_f32_e32 v87, v29, v15
	v_fma_f32 v15, v84, v15, -v16
	v_sub_f32_e32 v72, v80, v13
	v_sub_f32_e32 v16, v53, v85
	;; [unrolled: 1-line block ×6, first 2 shown]
	v_dual_sub_f32 v11, v67, v12 :: v_dual_sub_f32 v84, v81, v15
	v_dual_sub_f32 v12, v68, v87 :: v_dual_sub_f32 v13, v69, v14
	v_sub_f32_e32 v19, v79, v19
	v_fma_f32 v14, v53, 2.0, -v16
	v_fma_f32 v53, v17, 2.0, -v20
	;; [unrolled: 1-line block ×18, first 2 shown]
	ds_store_2addr_b32 v58, v14, v16 offset1:2
	ds_store_2addr_b32 v59, v15, v28 offset1:2
	;; [unrolled: 1-line block ×9, first 2 shown]
	global_wb scope:SCOPE_SE
	s_wait_dscnt 0x0
	s_barrier_signal -1
	s_barrier_wait -1
	global_inv scope:SCOPE_SE
	ds_load_b32 v64, v43
	ds_load_2addr_b32 v[11:12], v48 offset0:120 offset1:176
	ds_load_2addr_b32 v[13:14], v49 offset0:104 offset1:160
	;; [unrolled: 1-line block ×3, first 2 shown]
	ds_load_b32 v65, v31
	ds_load_b32 v66, v32
	;; [unrolled: 1-line block ×4, first 2 shown]
	ds_load_2addr_b32 v[17:18], v55 offset0:72 offset1:128
	ds_load_b32 v69, v0
	ds_load_b32 v82, v1
	;; [unrolled: 1-line block ×4, first 2 shown]
	ds_load_b32 v86, v43 offset:3808
	global_wb scope:SCOPE_SE
	s_wait_dscnt 0x0
	s_barrier_signal -1
	s_barrier_wait -1
	global_inv scope:SCOPE_SE
	ds_store_2addr_b32 v58, v53, v20 offset1:2
	ds_store_2addr_b32 v59, v71, v21 offset1:2
	;; [unrolled: 1-line block ×9, first 2 shown]
	global_wb scope:SCOPE_SE
	s_wait_dscnt 0x0
	s_barrier_signal -1
	s_barrier_wait -1
	global_inv scope:SCOPE_SE
	global_load_b64 v[19:20], v52, s[4:5] offset:16
	v_and_or_b32 v21, 0x78, v2, v51
	v_and_or_b32 v22, 0xf8, v3, v51
	;; [unrolled: 1-line block ×5, first 2 shown]
	v_lshl_add_u32 v53, v21, 2, 0
	v_lshl_add_u32 v58, v22, 2, 0
	ds_load_2addr_b32 v[21:22], v48 offset0:120 offset1:176
	v_and_or_b32 v37, 0x2f8, v7, v51
	v_and_or_b32 v38, 0x3f8, v8, v51
	;; [unrolled: 1-line block ×3, first 2 shown]
	v_lshl_add_u32 v59, v28, 2, 0
	v_lshl_add_u32 v60, v29, 2, 0
	;; [unrolled: 1-line block ×6, first 2 shown]
	ds_load_b32 v71, v43
	ds_load_2addr_b32 v[28:29], v49 offset0:104 offset1:160
	ds_load_2addr_b32 v[36:37], v33 offset0:88 offset1:144
	ds_load_b32 v72, v31
	ds_load_b32 v73, v32
	;; [unrolled: 1-line block ×4, first 2 shown]
	ds_load_2addr_b32 v[38:39], v55 offset0:72 offset1:128
	ds_load_b32 v76, v0
	ds_load_b32 v77, v1
	;; [unrolled: 1-line block ×4, first 2 shown]
	ds_load_b32 v80, v43 offset:3808
	v_and_or_b32 v51, 0x3f8, v10, v51
	global_wb scope:SCOPE_SE
	s_wait_loadcnt_dscnt 0x0
	s_barrier_signal -1
	s_barrier_wait -1
	global_inv scope:SCOPE_SE
	v_lshl_add_u32 v51, v51, 2, 0
	v_mul_f32_e32 v90, v29, v20
	v_mul_f32_e32 v81, v21, v20
	;; [unrolled: 1-line block ×3, first 2 shown]
	v_and_b32_e32 v23, 7, v56
	v_mul_f32_e32 v88, v12, v20
	v_fmac_f32_e32 v90, v14, v19
	v_dual_mul_f32 v94, v37, v20 :: v_dual_fmac_f32 v81, v11, v19
	v_dual_mul_f32 v87, v11, v20 :: v_dual_fmac_f32 v84, v12, v19
	v_mul_f32_e32 v12, v38, v20
	s_delay_alu instid0(VALU_DEP_3) | instskip(SKIP_1) | instid1(VALU_DEP_4)
	v_fmac_f32_e32 v94, v16, v19
	v_mul_f32_e32 v89, v28, v20
	v_fma_f32 v21, v21, v19, -v87
	v_mul_f32_e32 v87, v39, v20
	v_mul_f32_e32 v92, v14, v20
	;; [unrolled: 1-line block ×5, first 2 shown]
	v_fmac_f32_e32 v87, v18, v19
	s_delay_alu instid0(VALU_DEP_4)
	v_dual_mul_f32 v91, v13, v20 :: v_dual_fmac_f32 v14, v86, v19
	v_fmac_f32_e32 v12, v17, v19
	v_fmac_f32_e32 v89, v13, v19
	v_mul_f32_e32 v93, v36, v20
	v_mul_f32_e32 v13, v18, v20
	v_fma_f32 v22, v22, v19, -v88
	v_mul_f32_e32 v88, v17, v20
	v_mul_f32_e32 v20, v86, v20
	v_fma_f32 v28, v28, v19, -v91
	v_fma_f32 v29, v29, v19, -v92
	v_fmac_f32_e32 v93, v15, v19
	v_fma_f32 v13, v39, v19, -v13
	v_sub_f32_e32 v18, v64, v81
	v_fma_f32 v15, v36, v19, -v95
	v_sub_f32_e32 v36, v65, v90
	v_fma_f32 v11, v37, v19, -v11
	v_fma_f32 v16, v38, v19, -v88
	;; [unrolled: 1-line block ×3, first 2 shown]
	v_dual_sub_f32 v19, v71, v21 :: v_dual_sub_f32 v20, v85, v84
	v_sub_f32_e32 v21, v79, v22
	v_sub_f32_e32 v22, v83, v89
	v_dual_sub_f32 v28, v78, v28 :: v_dual_sub_f32 v29, v72, v29
	v_dual_sub_f32 v37, v66, v93 :: v_dual_sub_f32 v80, v75, v16
	;; [unrolled: 1-line block ×5, first 2 shown]
	v_sub_f32_e32 v81, v76, v13
	v_dual_sub_f32 v13, v82, v14 :: v_dual_lshlrev_b32 v52, 3, v23
	v_fma_f32 v14, v64, 2.0, -v18
	v_fma_f32 v64, v71, 2.0, -v19
	v_fma_f32 v16, v85, 2.0, -v20
	v_fma_f32 v71, v79, 2.0, -v21
	v_fma_f32 v17, v83, 2.0, -v22
	v_fma_f32 v78, v78, 2.0, -v28
	v_fma_f32 v65, v65, 2.0, -v36
	v_fma_f32 v72, v72, 2.0, -v29
	v_fma_f32 v66, v66, 2.0, -v37
	v_fma_f32 v73, v73, 2.0, -v38
	v_fma_f32 v67, v67, 2.0, -v15
	v_fma_f32 v68, v68, 2.0, -v11
	v_fma_f32 v69, v69, 2.0, -v12
	v_fma_f32 v79, v82, 2.0, -v13
	v_fma_f32 v74, v74, 2.0, -v39
	v_fma_f32 v75, v75, 2.0, -v80
	v_fma_f32 v76, v76, 2.0, -v81
	v_fma_f32 v77, v77, 2.0, -v84
	ds_store_2addr_b32 v53, v14, v18 offset1:4
	ds_store_2addr_b32 v58, v16, v20 offset1:4
	;; [unrolled: 1-line block ×9, first 2 shown]
	global_wb scope:SCOPE_SE
	s_wait_dscnt 0x0
	s_barrier_signal -1
	s_barrier_wait -1
	global_inv scope:SCOPE_SE
	ds_load_b32 v22, v43
	ds_load_2addr_b32 v[11:12], v48 offset0:120 offset1:176
	ds_load_2addr_b32 v[13:14], v49 offset0:104 offset1:160
	;; [unrolled: 1-line block ×3, first 2 shown]
	ds_load_b32 v36, v31
	ds_load_b32 v37, v32
	;; [unrolled: 1-line block ×4, first 2 shown]
	ds_load_2addr_b32 v[17:18], v55 offset0:72 offset1:128
	ds_load_b32 v67, v0
	ds_load_b32 v68, v1
	;; [unrolled: 1-line block ×4, first 2 shown]
	ds_load_b32 v82, v43 offset:3808
	global_wb scope:SCOPE_SE
	s_wait_dscnt 0x0
	s_barrier_signal -1
	s_barrier_wait -1
	global_inv scope:SCOPE_SE
	ds_store_2addr_b32 v53, v64, v19 offset1:4
	ds_store_2addr_b32 v58, v71, v21 offset1:4
	;; [unrolled: 1-line block ×9, first 2 shown]
	global_wb scope:SCOPE_SE
	s_wait_dscnt 0x0
	s_barrier_signal -1
	s_barrier_wait -1
	global_inv scope:SCOPE_SE
	global_load_b64 v[19:20], v52, s[4:5] offset:48
	v_and_or_b32 v2, 0x70, v2, v23
	v_and_or_b32 v3, 0xf0, v3, v23
	;; [unrolled: 1-line block ×9, first 2 shown]
	v_lshl_add_u32 v64, v2, 2, 0
	v_lshl_add_u32 v70, v3, 2, 0
	;; [unrolled: 1-line block ×8, first 2 shown]
	ds_load_2addr_b32 v[2:3], v48 offset0:120 offset1:176
	ds_load_b32 v21, v43
	ds_load_2addr_b32 v[4:5], v49 offset0:104 offset1:160
	ds_load_2addr_b32 v[6:7], v33 offset0:88 offset1:144
	ds_load_b32 v23, v31
	ds_load_b32 v28, v32
	;; [unrolled: 1-line block ×4, first 2 shown]
	ds_load_2addr_b32 v[8:9], v55 offset0:72 offset1:128
	ds_load_b32 v0, v0
	ds_load_b32 v1, v1
	;; [unrolled: 1-line block ×4, first 2 shown]
	ds_load_b32 v53, v43 offset:3808
	v_and_b32_e32 v60, 15, v44
	v_add_nc_u32_e32 v51, 0x400, v43
	v_and_b32_e32 v58, 15, v54
	v_lshl_add_u32 v10, v10, 2, 0
	global_wb scope:SCOPE_SE
	s_wait_loadcnt_dscnt 0x0
	s_barrier_signal -1
	s_barrier_wait -1
	v_lshlrev_b32_e32 v62, 4, v58
	global_inv scope:SCOPE_SE
	v_mul_f32_e32 v80, v4, v20
	v_mul_f32_e32 v93, v53, v20
	;; [unrolled: 1-line block ×6, first 2 shown]
	v_fmac_f32_e32 v93, v82, v19
	v_mul_f32_e32 v85, v6, v20
	v_mul_f32_e32 v90, v17, v20
	v_fmac_f32_e32 v89, v17, v19
	v_dual_fmac_f32 v80, v13, v19 :: v_dual_lshlrev_b32 v63, 4, v60
	s_delay_alu instid0(VALU_DEP_4)
	v_fmac_f32_e32 v85, v15, v19
	v_mul_f32_e32 v59, v2, v20
	v_mul_f32_e32 v77, v3, v20
	;; [unrolled: 1-line block ×4, first 2 shown]
	v_dual_mul_f32 v92, v18, v20 :: v_dual_fmac_f32 v87, v16, v19
	v_fma_f32 v2, v2, v19, -v61
	v_fmac_f32_e32 v91, v18, v19
	v_sub_f32_e32 v18, v66, v89
	v_dual_mul_f32 v88, v16, v20 :: v_dual_fmac_f32 v83, v14, v19
	v_sub_f32_e32 v16, v37, v85
	v_dual_mul_f32 v86, v15, v20 :: v_dual_fmac_f32 v77, v12, v19
	v_fma_f32 v3, v3, v19, -v78
	s_delay_alu instid0(VALU_DEP_4) | instskip(SKIP_1) | instid1(VALU_DEP_4)
	v_fma_f32 v7, v7, v19, -v88
	v_fma_f32 v8, v8, v19, -v90
	;; [unrolled: 1-line block ×3, first 2 shown]
	v_mul_f32_e32 v81, v13, v20
	v_sub_f32_e32 v2, v21, v2
	v_dual_mul_f32 v84, v14, v20 :: v_dual_fmac_f32 v59, v11, v19
	v_dual_mul_f32 v20, v82, v20 :: v_dual_sub_f32 v13, v79, v77
	v_dual_sub_f32 v3, v52, v3 :: v_dual_sub_f32 v8, v38, v8
	v_sub_f32_e32 v6, v28, v6
	s_delay_alu instid0(VALU_DEP_3)
	v_fma_f32 v11, v53, v19, -v20
	v_sub_f32_e32 v17, v65, v87
	v_dual_sub_f32 v7, v29, v7 :: v_dual_sub_f32 v20, v68, v93
	v_fma_f32 v5, v5, v19, -v84
	v_fma_f32 v4, v4, v19, -v81
	v_sub_f32_e32 v12, v22, v59
	v_sub_f32_e32 v14, v69, v80
	v_fma_f32 v80, v28, 2.0, -v6
	v_fma_f32 v28, v65, 2.0, -v17
	;; [unrolled: 1-line block ×6, first 2 shown]
	v_dual_sub_f32 v15, v36, v83 :: v_dual_and_b32 v68, 15, v56
	v_fma_f32 v9, v9, v19, -v92
	v_sub_f32_e32 v5, v23, v5
	v_sub_f32_e32 v19, v67, v91
	;; [unrolled: 1-line block ×3, first 2 shown]
	v_fma_f32 v22, v22, 2.0, -v12
	v_fma_f32 v77, v21, 2.0, -v2
	;; [unrolled: 1-line block ×9, first 2 shown]
	v_sub_f32_e32 v9, v0, v9
	v_fma_f32 v69, v39, 2.0, -v4
	ds_store_2addr_b32 v64, v22, v12 offset1:8
	ds_store_2addr_b32 v70, v21, v13 offset1:8
	;; [unrolled: 1-line block ×9, first 2 shown]
	global_wb scope:SCOPE_SE
	s_wait_dscnt 0x0
	s_barrier_signal -1
	s_barrier_wait -1
	global_inv scope:SCOPE_SE
	ds_load_b32 v38, v43
	ds_load_2addr_b32 v[16:17], v49 offset0:104 offset1:160
	ds_load_2addr_b32 v[28:29], v51 offset0:136 offset1:192
	;; [unrolled: 1-line block ×5, first 2 shown]
	ds_load_b32 v39, v31
	ds_load_b32 v36, v32
	;; [unrolled: 1-line block ×6, first 2 shown]
	ds_load_b32 v59, v43 offset:3808
	v_sub_f32_e32 v11, v1, v11
	v_fma_f32 v0, v0, 2.0, -v9
	global_wb scope:SCOPE_SE
	s_wait_dscnt 0x0
	s_barrier_signal -1
	s_barrier_wait -1
	v_fma_f32 v1, v1, 2.0, -v11
	global_inv scope:SCOPE_SE
	ds_store_2addr_b32 v64, v77, v2 offset1:8
	ds_store_2addr_b32 v70, v78, v3 offset1:8
	;; [unrolled: 1-line block ×9, first 2 shown]
	global_wb scope:SCOPE_SE
	s_wait_dscnt 0x0
	s_barrier_signal -1
	s_barrier_wait -1
	global_inv scope:SCOPE_SE
	s_clause 0x1
	global_load_b128 v[12:15], v62, s[4:5] offset:112
	global_load_b128 v[8:11], v63, s[4:5] offset:112
	v_lshlrev_b32_e32 v0, 4, v68
	v_lshrrev_b32_e32 v64, 4, v57
	v_lshrrev_b32_e32 v62, 4, v56
	;; [unrolled: 1-line block ×4, first 2 shown]
	global_load_b128 v[0:3], v0, s[4:5] offset:112
	v_mul_lo_u32 v78, v64, 48
	v_lshrrev_b32_e32 v65, 4, v44
	v_and_b32_e32 v73, 0xff, v57
	v_and_b32_e32 v74, 0xff, v44
	v_mul_u32_u24_e32 v62, 48, v62
	v_mul_lo_u32 v77, v63, 48
	v_mul_lo_u32 v81, v67, 48
	v_and_b32_e32 v69, 15, v46
	v_mul_lo_u32 v79, v65, 48
	v_mul_lo_u16 v64, 0xab, v73
	v_mul_lo_u16 v65, 0xab, v74
	v_or_b32_e32 v73, v62, v68
	v_or_b32_e32 v74, v78, v68
	;; [unrolled: 1-line block ×4, first 2 shown]
	v_and_b32_e32 v72, 0xff, v54
	v_lshl_add_u32 v81, v73, 2, 0
	v_lshl_add_u32 v85, v74, 2, 0
	ds_load_2addr_b32 v[73:74], v33 offset0:88 offset1:144
	v_lshrrev_b32_e32 v66, 4, v45
	v_mul_lo_u16 v63, 0xab, v72
	v_subrev_nc_u32_e32 v70, 48, v56
	v_and_b32_e32 v76, 0xffff, v46
	v_or_b32_e32 v60, v79, v60
	v_mul_lo_u32 v80, v66, 48
	v_lshrrev_b16 v62, 13, v63
	v_lshrrev_b16 v63, 13, v64
	s_wait_alu 0xf1ff
	v_cndmask_b32_e64 v66, v70, v56, s0
	v_mul_u32_u24_e32 v67, 0xaaab, v76
	v_lshl_add_u32 v84, v58, 2, 0
	v_lshl_add_u32 v92, v77, 2, 0
	v_mul_lo_u16 v78, v63, 48
	v_lshlrev_b32_e32 v70, 1, v66
	v_or_b32_e32 v68, v80, v68
	v_lshrrev_b16 v64, 13, v65
	v_lshl_add_u32 v86, v60, 2, 0
	v_sub_nc_u16 v79, v57, v78
	ds_load_2addr_b32 v[77:78], v55 offset0:72 offset1:128
	v_mov_b32_e32 v71, 0
	v_lshl_add_u32 v91, v68, 2, 0
	v_mul_lo_u16 v82, v64, 48
	v_and_b32_e32 v68, 0xff, v79
	s_delay_alu instid0(VALU_DEP_1) | instskip(SKIP_4) | instid1(VALU_DEP_3)
	v_lshlrev_b32_e32 v94, 4, v68
	s_wait_loadcnt_dscnt 0x201
	v_mul_f32_e32 v88, v73, v15
	v_lshlrev_b32_e32 v4, 4, v69
	v_lshlrev_b64_e32 v[69:70], 3, v[70:71]
	v_fmac_f32_e32 v88, v22, v14
	global_load_b128 v[4:7], v4, s[4:5] offset:112
	v_and_b32_e32 v75, 0xffff, v45
	v_mul_f32_e32 v15, v22, v15
	s_wait_loadcnt 0x1
	v_mul_f32_e32 v22, v23, v3
	v_add_co_u32 v69, s0, s4, v69
	v_mul_u32_u24_e32 v72, 0xaaab, v75
	v_mul_lo_u16 v75, v62, 48
	s_delay_alu instid0(VALU_DEP_4)
	v_fma_f32 v22, v74, v2, -v22
	s_wait_alu 0xf1ff
	v_add_co_ci_u32_e64 v70, s0, s5, v70, s0
	v_lshrrev_b32_e32 v65, 21, v72
	v_sub_nc_u16 v58, v54, v75
	ds_load_2addr_b32 v[75:76], v48 offset0:120 offset1:176
	ds_load_2addr_b32 v[71:72], v51 offset0:136 offset1:192
	v_cmp_lt_u32_e64 s0, 47, v56
	v_mul_lo_u16 v83, v65, 48
	v_and_b32_e32 v60, 0xff, v58
	ds_load_b32 v58, v35
	ds_load_2addr_b32 v[79:80], v49 offset0:104 offset1:160
	v_lshlrev_b32_e32 v93, 4, v60
	s_wait_dscnt 0x3
	v_mul_f32_e32 v89, v75, v9
	v_mul_f32_e32 v9, v20, v9
	s_delay_alu instid0(VALU_DEP_2)
	v_dual_fmac_f32 v89, v20, v8 :: v_dual_mul_f32 v20, v74, v3
	s_wait_dscnt 0x1
	v_mul_f32_e32 v74, v58, v1
	v_mul_f32_e32 v87, v71, v13
	v_mul_f32_e32 v13, v28, v13
	v_add_f32_e32 v90, v39, v89
	v_fmac_f32_e32 v20, v23, v2
	v_fmac_f32_e32 v74, v61, v0
	;; [unrolled: 1-line block ×3, first 2 shown]
	v_fma_f32 v12, v71, v12, -v13
	v_mul_f32_e32 v23, v76, v1
	v_mul_f32_e32 v28, v21, v1
	v_fma_f32 v13, v73, v14, -v15
	v_mul_f32_e32 v14, v77, v11
	v_mul_f32_e32 v11, v18, v11
	v_fmac_f32_e32 v23, v21, v0
	v_mul_f32_e32 v21, v78, v3
	v_fma_f32 v28, v76, v0, -v28
	v_fmac_f32_e32 v14, v18, v10
	s_delay_alu instid0(VALU_DEP_3) | instskip(NEXT) | instid1(VALU_DEP_1)
	v_dual_mul_f32 v18, v29, v1 :: v_dual_fmac_f32 v21, v19, v2
	v_fma_f32 v18, v72, v0, -v18
	s_wait_loadcnt_dscnt 0x0
	v_mul_f32_e32 v76, v79, v5
	v_mul_f32_e32 v15, v72, v1
	v_mul_f32_e32 v5, v16, v5
	s_delay_alu instid0(VALU_DEP_3) | instskip(SKIP_1) | instid1(VALU_DEP_4)
	v_fmac_f32_e32 v76, v16, v4
	v_add_f32_e32 v16, v53, v87
	v_fmac_f32_e32 v15, v29, v0
	v_mul_f32_e32 v29, v19, v3
	v_mul_f32_e32 v19, v80, v3
	;; [unrolled: 1-line block ×3, first 2 shown]
	v_dual_mul_f32 v1, v61, v1 :: v_dual_add_f32 v16, v16, v88
	s_delay_alu instid0(VALU_DEP_4) | instskip(NEXT) | instid1(VALU_DEP_4)
	v_fma_f32 v29, v78, v2, -v29
	v_fmac_f32_e32 v19, v17, v2
	s_delay_alu instid0(VALU_DEP_4)
	v_fma_f32 v2, v80, v2, -v3
	v_fma_f32 v3, v79, v4, -v5
	v_add_f32_e32 v4, v38, v74
	v_fma_f32 v8, v75, v8, -v9
	v_fma_f32 v9, v77, v10, -v11
	ds_load_b32 v10, v43
	ds_load_b32 v11, v43 offset:3808
	ds_load_b32 v71, v31
	ds_load_b32 v73, v32
	;; [unrolled: 1-line block ×5, first 2 shown]
	v_fma_f32 v0, v58, v0, -v1
	v_dual_mul_f32 v1, v59, v7 :: v_dual_sub_f32 v58, v12, v13
	v_add_f32_e32 v5, v74, v19
	v_sub_f32_e32 v80, v18, v22
	global_wb scope:SCOPE_SE
	s_wait_dscnt 0x0
	s_barrier_signal -1
	s_barrier_wait -1
	v_fmac_f32_e32 v38, -0.5, v5
	global_inv scope:SCOPE_SE
	v_mul_f32_e32 v61, v11, v7
	v_fma_f32 v1, v11, v6, -v1
	v_add_f32_e32 v7, v10, v0
	s_delay_alu instid0(VALU_DEP_3)
	v_fmac_f32_e32 v61, v59, v6
	v_sub_f32_e32 v6, v0, v2
	v_add_f32_e32 v0, v0, v2
	v_dual_add_f32 v78, v52, v15 :: v_dual_add_f32 v17, v87, v88
	v_add_f32_e32 v79, v15, v20
	v_sub_f32_e32 v15, v15, v20
	s_delay_alu instid0(VALU_DEP_4)
	v_dual_fmac_f32 v10, -0.5, v0 :: v_dual_sub_f32 v11, v74, v19
	v_sub_f32_e32 v74, v87, v88
	v_dual_add_f32 v87, v75, v18 :: v_dual_add_f32 v20, v78, v20
	v_dual_add_f32 v78, v72, v3 :: v_dual_add_f32 v59, v77, v12
	v_fmac_f32_e32 v52, -0.5, v79
	v_dual_add_f32 v12, v12, v13 :: v_dual_add_f32 v95, v89, v14
	v_sub_f32_e32 v88, v28, v29
	s_delay_alu instid0(VALU_DEP_4)
	v_add_f32_e32 v96, v59, v13
	v_sub_f32_e32 v59, v3, v1
	v_add_f32_e32 v3, v3, v1
	v_dual_fmac_f32 v77, -0.5, v12 :: v_dual_add_f32 v12, v76, v61
	v_add_f32_e32 v18, v18, v22
	v_add_f32_e32 v4, v4, v19
	v_sub_f32_e32 v19, v8, v9
	v_add_f32_e32 v0, v23, v21
	v_dual_fmac_f32 v53, -0.5, v17 :: v_dual_fmac_f32 v72, -0.5, v3
	v_dual_add_f32 v17, v73, v28 :: v_dual_add_f32 v28, v28, v29
	v_fmamk_f32 v3, v6, 0xbf5db3d7, v38
	v_dual_fmac_f32 v38, 0x3f5db3d7, v6 :: v_dual_add_f32 v5, v71, v8
	v_add_f32_e32 v8, v8, v9
	v_dual_add_f32 v2, v7, v2 :: v_dual_add_f32 v13, v37, v76
	v_dual_fmamk_f32 v6, v11, 0x3f5db3d7, v10 :: v_dual_add_f32 v7, v36, v23
	v_fmac_f32_e32 v39, -0.5, v95
	v_fmac_f32_e32 v37, -0.5, v12
	v_dual_sub_f32 v89, v89, v14 :: v_dual_fmac_f32 v36, -0.5, v0
	v_dual_sub_f32 v23, v23, v21 :: v_dual_fmac_f32 v10, 0xbf5db3d7, v11
	v_dual_sub_f32 v76, v76, v61 :: v_dual_fmac_f32 v75, -0.5, v18
	v_fmac_f32_e32 v71, -0.5, v8
	v_dual_fmac_f32 v73, -0.5, v28 :: v_dual_add_f32 v0, v17, v29
	v_add_f32_e32 v5, v5, v9
	v_fmamk_f32 v9, v58, 0xbf5db3d7, v53
	v_fmac_f32_e32 v53, 0x3f5db3d7, v58
	v_add_f32_e32 v14, v90, v14
	v_add_f32_e32 v8, v13, v61
	v_dual_add_f32 v7, v7, v21 :: v_dual_fmamk_f32 v12, v80, 0xbf5db3d7, v52
	v_fmac_f32_e32 v52, 0x3f5db3d7, v80
	v_fmamk_f32 v13, v19, 0xbf5db3d7, v39
	v_fmamk_f32 v21, v59, 0xbf5db3d7, v37
	v_add_f32_e32 v79, v87, v22
	v_fmac_f32_e32 v39, 0x3f5db3d7, v19
	v_fmamk_f32 v18, v88, 0xbf5db3d7, v36
	v_dual_fmac_f32 v36, 0x3f5db3d7, v88 :: v_dual_fmamk_f32 v19, v23, 0x3f5db3d7, v73
	v_fmac_f32_e32 v73, 0xbf5db3d7, v23
	v_fmac_f32_e32 v37, 0x3f5db3d7, v59
	v_fmamk_f32 v61, v76, 0x3f5db3d7, v72
	v_fmac_f32_e32 v72, 0xbf5db3d7, v76
	v_fmamk_f32 v17, v15, 0x3f5db3d7, v75
	;; [unrolled: 2-line block ×3, first 2 shown]
	v_fmac_f32_e32 v71, 0xbf5db3d7, v89
	ds_store_2addr_b32 v81, v4, v3 offset1:16
	ds_store_b32 v81, v38 offset:128
	ds_store_2addr_b32 v84, v16, v9 offset1:16
	ds_store_b32 v84, v53 offset:128
	;; [unrolled: 2-line block ×6, first 2 shown]
	global_wb scope:SCOPE_SE
	s_wait_dscnt 0x0
	s_barrier_signal -1
	s_barrier_wait -1
	global_inv scope:SCOPE_SE
	ds_load_b32 v95, v43
	ds_load_2addr_b32 v[22:23], v49 offset0:104 offset1:160
	ds_load_2addr_b32 v[12:13], v51 offset0:136 offset1:192
	;; [unrolled: 1-line block ×5, first 2 shown]
	ds_load_b32 v97, v31
	ds_load_b32 v58, v32
	;; [unrolled: 1-line block ×6, first 2 shown]
	ds_load_b32 v100, v43 offset:3808
	v_fmamk_f32 v11, v74, 0x3f5db3d7, v77
	v_fmac_f32_e32 v77, 0xbf5db3d7, v74
	v_dual_add_f32 v1, v78, v1 :: v_dual_and_b32 v8, 0xffff, v64
	global_wb scope:SCOPE_SE
	s_wait_dscnt 0x0
	s_barrier_signal -1
	s_barrier_wait -1
	global_inv scope:SCOPE_SE
	ds_store_2addr_b32 v81, v2, v6 offset1:16
	ds_store_b32 v81, v10 offset:128
	ds_store_2addr_b32 v84, v96, v11 offset1:16
	ds_store_b32 v84, v77 offset:128
	;; [unrolled: 2-line block ×6, first 2 shown]
	global_wb scope:SCOPE_SE
	s_wait_dscnt 0x0
	s_barrier_signal -1
	s_barrier_wait -1
	global_inv scope:SCOPE_SE
	global_load_b128 v[17:20], v93, s[4:5] offset:368
	v_sub_nc_u16 v0, v44, v82
	v_lshrrev_b32_e32 v2, 21, v67
	v_sub_nc_u16 v1, v45, v83
	s_clause 0x1
	global_load_b128 v[36:39], v94, s[4:5] offset:368
	global_load_b128 v[70:73], v[69:70], off offset:368
	ds_load_2addr_b32 v[44:45], v51 offset0:136 offset1:192
	v_and_b32_e32 v3, 0xff, v0
	v_mul_lo_u16 v0, v2, 48
	v_and_b32_e32 v4, 0xffff, v1
	v_mul_u32_u24_e32 v9, 0x240, v65
	v_mul_u32_u24_e32 v10, 0x240, v2
	v_lshlrev_b32_e32 v1, 4, v3
	v_sub_nc_u16 v0, v46, v0
	v_lshlrev_b32_e32 v5, 4, v4
	v_lshlrev_b32_e32 v15, 2, v4
	;; [unrolled: 1-line block ×3, first 2 shown]
	global_load_b128 v[75:78], v1, s[4:5] offset:368
	v_and_b32_e32 v6, 0xffff, v0
	global_load_b128 v[79:82], v5, s[4:5] offset:368
	v_lshlrev_b32_e32 v5, 2, v66
	v_lshlrev_b32_e32 v14, 2, v3
	;; [unrolled: 1-line block ×4, first 2 shown]
	v_add3_u32 v6, 0, v9, v15
	global_load_b128 v[83:86], v0, s[4:5] offset:368
	s_wait_alu 0xf1ff
	v_cndmask_b32_e64 v1, 0, 0x240, s0
	v_add_nc_u32_e32 v0, 0x200, v43
	v_cmp_gt_u32_e64 s0, 32, v56
	s_delay_alu instid0(VALU_DEP_3) | instskip(SKIP_1) | instid1(VALU_DEP_1)
	v_add3_u32 v1, 0, v1, v5
	v_and_b32_e32 v5, 0xffff, v62
	v_mul_u32_u24_e32 v2, 0x240, v5
	s_wait_loadcnt_dscnt 0x500
	v_mul_f32_e32 v15, v44, v18
	s_delay_alu instid0(VALU_DEP_1)
	v_fmac_f32_e32 v15, v12, v17
	v_and_b32_e32 v7, 0xffff, v63
	ds_load_2addr_b32 v[62:63], v33 offset0:88 offset1:144
	v_mul_u32_u24_e32 v5, 0x240, v7
	v_mul_u32_u24_e32 v7, 0x240, v8
	v_lshlrev_b32_e32 v8, 2, v60
	s_delay_alu instid0(VALU_DEP_2) | instskip(NEXT) | instid1(VALU_DEP_2)
	v_add3_u32 v4, 0, v7, v14
	v_add3_u32 v3, 0, v2, v8
	;; [unrolled: 1-line block ×4, first 2 shown]
	ds_load_b32 v33, v35
	ds_load_2addr_b32 v[64:65], v49 offset0:104 offset1:160
	ds_load_b32 v8, v43
	ds_load_2addr_b32 v[91:92], v48 offset0:120 offset1:176
	ds_load_2addr_b32 v[93:94], v55 offset0:72 offset1:128
	ds_load_b32 v7, v31
	ds_load_b32 v60, v32
	;; [unrolled: 1-line block ×5, first 2 shown]
	ds_load_b32 v30, v43 offset:3808
	v_mul_f32_e32 v14, v12, v18
	s_wait_loadcnt 0x4
	v_mul_f32_e32 v32, v13, v37
	s_wait_loadcnt 0x3
	v_dual_mul_f32 v35, v29, v39 :: v_dual_mul_f32 v34, v23, v73
	global_wb scope:SCOPE_SE
	s_wait_loadcnt_dscnt 0x0
	v_mul_f32_e32 v16, v62, v20
	v_mul_f32_e32 v20, v28, v20
	v_fma_f32 v69, v44, v17, -v14
	v_mul_f32_e32 v18, v63, v39
	v_fma_f32 v67, v45, v36, -v32
	v_fmac_f32_e32 v16, v28, v19
	v_fma_f32 v52, v62, v19, -v20
	v_mul_f32_e32 v12, v92, v80
	v_mul_f32_e32 v20, v93, v78
	;; [unrolled: 1-line block ×3, first 2 shown]
	v_fmac_f32_e32 v18, v29, v38
	v_mul_f32_e32 v46, v33, v71
	v_dual_fmac_f32 v12, v88, v79 :: v_dual_mul_f32 v11, v45, v37
	v_dual_fmac_f32 v20, v89, v77 :: v_dual_mul_f32 v17, v30, v86
	v_fmac_f32_e32 v14, v90, v81
	s_delay_alu instid0(VALU_DEP_3) | instskip(NEXT) | instid1(VALU_DEP_4)
	v_add_f32_e32 v62, v58, v12
	v_fmac_f32_e32 v11, v13, v36
	v_mul_f32_e32 v13, v64, v84
	v_fma_f32 v45, v63, v38, -v35
	v_fmac_f32_e32 v17, v100, v85
	v_add_f32_e32 v63, v12, v14
	v_mul_f32_e32 v37, v89, v78
	v_fmac_f32_e32 v13, v22, v83
	v_mul_f32_e32 v19, v91, v76
	v_sub_f32_e32 v36, v67, v45
	v_dual_fmac_f32 v58, -0.5, v63 :: v_dual_mul_f32 v35, v100, v86
	s_delay_alu instid0(VALU_DEP_3) | instskip(SKIP_3) | instid1(VALU_DEP_4)
	v_dual_add_f32 v66, v13, v17 :: v_dual_fmac_f32 v19, v87, v75
	v_fma_f32 v68, v93, v77, -v37
	v_dual_mul_f32 v39, v88, v80 :: v_dual_mul_f32 v32, v90, v82
	v_fmac_f32_e32 v46, v21, v70
	v_dual_add_f32 v38, v19, v20 :: v_dual_add_f32 v37, v97, v19
	v_mul_f32_e32 v28, v87, v76
	s_barrier_signal -1
	s_barrier_wait -1
	s_delay_alu instid0(VALU_DEP_2)
	v_fmac_f32_e32 v97, -0.5, v38
	v_mul_f32_e32 v29, v22, v84
	v_fma_f32 v22, v30, v85, -v35
	v_add_f32_e32 v35, v11, v18
	global_inv scope:SCOPE_SE
	v_lshl_add_u32 v77, v56, 2, 0
	v_fma_f32 v44, v64, v83, -v29
	v_mul_f32_e32 v53, v65, v73
	s_delay_alu instid0(VALU_DEP_1)
	v_fmac_f32_e32 v53, v23, v72
	v_fma_f32 v23, v92, v79, -v39
	v_mul_f32_e32 v31, v21, v71
	v_fma_f32 v21, v94, v81, -v32
	v_fma_f32 v71, v65, v72, -v34
	v_add_f32_e32 v29, v46, v53
	v_add_f32_e32 v34, v98, v11
	v_fmac_f32_e32 v98, -0.5, v35
	v_sub_f32_e32 v64, v23, v21
	v_fma_f32 v74, v33, v70, -v31
	v_add_f32_e32 v32, v15, v16
	v_fma_f32 v70, v91, v75, -v28
	v_dual_add_f32 v28, v95, v46 :: v_dual_fmac_f32 v95, -0.5, v29
	s_delay_alu instid0(VALU_DEP_4)
	v_sub_f32_e32 v30, v74, v71
	v_add_f32_e32 v31, v99, v15
	v_sub_f32_e32 v33, v69, v52
	v_fmac_f32_e32 v99, -0.5, v32
	v_sub_f32_e32 v39, v70, v68
	v_dual_add_f32 v65, v59, v13 :: v_dual_sub_f32 v72, v44, v22
	v_dual_add_f32 v28, v28, v53 :: v_dual_fmac_f32 v59, -0.5, v66
	v_fmamk_f32 v35, v30, 0xbf5db3d7, v95
	v_fmac_f32_e32 v95, 0x3f5db3d7, v30
	v_dual_add_f32 v29, v31, v16 :: v_dual_fmamk_f32 v30, v33, 0xbf5db3d7, v99
	v_fmac_f32_e32 v99, 0x3f5db3d7, v33
	v_dual_add_f32 v31, v34, v18 :: v_dual_add_f32 v32, v37, v20
	v_dual_add_f32 v34, v62, v14 :: v_dual_fmamk_f32 v33, v36, 0xbf5db3d7, v98
	v_fmac_f32_e32 v98, 0x3f5db3d7, v36
	v_dual_fmamk_f32 v36, v39, 0xbf5db3d7, v97 :: v_dual_fmamk_f32 v37, v64, 0xbf5db3d7, v58
	v_dual_add_f32 v62, v65, v17 :: v_dual_fmac_f32 v97, 0x3f5db3d7, v39
	v_fmac_f32_e32 v58, 0x3f5db3d7, v64
	v_fmamk_f32 v63, v72, 0xbf5db3d7, v59
	v_fmac_f32_e32 v59, 0x3f5db3d7, v72
	ds_store_2addr_b32 v1, v28, v35 offset1:48
	ds_store_b32 v1, v95 offset:384
	ds_store_2addr_b32 v3, v29, v30 offset1:48
	ds_store_b32 v3, v99 offset:384
	;; [unrolled: 2-line block ×6, first 2 shown]
	global_wb scope:SCOPE_SE
	s_wait_dscnt 0x0
	s_barrier_signal -1
	s_barrier_wait -1
	global_inv scope:SCOPE_SE
	ds_load_2addr_b32 v[28:29], v43 offset1:144
	ds_load_2addr_b32 v[30:31], v0 offset0:72 offset1:160
	ds_load_2addr_b32 v[32:33], v51 offset0:88 offset1:176
	;; [unrolled: 1-line block ×5, first 2 shown]
	ds_load_b32 v72, v50
	ds_load_b32 v73, v43 offset:3680
	v_sub_nc_u32_e32 v50, 0, v47
	v_sub_nc_u32_e32 v47, 0, v41
                                        ; implicit-def: $vgpr64
                                        ; implicit-def: $vgpr66
                                        ; implicit-def: $vgpr65
	s_delay_alu instid0(VALU_DEP_2)
	v_add_nc_u32_e32 v75, v40, v50
	s_and_saveexec_b32 s1, s0
	s_cbranch_execz .LBB0_15
; %bb.14:
	ds_load_b32 v63, v43 offset:1600
	ds_load_b32 v64, v43 offset:2752
	;; [unrolled: 1-line block ×5, first 2 shown]
	ds_load_b32 v58, v75
	ds_load_b32 v66, v43 offset:3904
.LBB0_15:
	s_wait_alu 0xfffe
	s_or_b32 exec_lo, exec_lo, s1
	v_dual_add_f32 v40, v74, v71 :: v_dual_add_f32 v41, v8, v74
	v_dual_sub_f32 v46, v46, v53 :: v_dual_sub_f32 v15, v15, v16
	global_wb scope:SCOPE_SE
	s_wait_dscnt 0x0
	v_fmac_f32_e32 v8, -0.5, v40
	v_add_f32_e32 v50, v69, v52
	v_dual_add_f32 v40, v10, v69 :: v_dual_sub_f32 v11, v11, v18
	s_delay_alu instid0(VALU_DEP_3) | instskip(NEXT) | instid1(VALU_DEP_3)
	v_dual_add_f32 v16, v41, v71 :: v_dual_fmamk_f32 v41, v46, 0x3f5db3d7, v8
	v_fmac_f32_e32 v10, -0.5, v50
	s_delay_alu instid0(VALU_DEP_3)
	v_add_f32_e32 v40, v40, v52
	v_add_f32_e32 v52, v9, v67
	v_fmac_f32_e32 v8, 0xbf5db3d7, v46
	v_add_f32_e32 v46, v67, v45
	s_barrier_signal -1
	s_barrier_wait -1
	v_dual_add_f32 v18, v52, v45 :: v_dual_add_f32 v45, v7, v70
	v_fmamk_f32 v50, v15, 0x3f5db3d7, v10
	v_dual_fmac_f32 v10, 0xbf5db3d7, v15 :: v_dual_add_f32 v15, v70, v68
	v_fmac_f32_e32 v9, -0.5, v46
	global_inv scope:SCOPE_SE
                                        ; implicit-def: $vgpr69
                                        ; implicit-def: $vgpr71
                                        ; implicit-def: $vgpr70
	v_fmac_f32_e32 v7, -0.5, v15
	v_sub_f32_e32 v15, v19, v20
	v_fmamk_f32 v19, v11, 0x3f5db3d7, v9
	v_fmac_f32_e32 v9, 0xbf5db3d7, v11
	v_dual_add_f32 v11, v45, v68 :: v_dual_add_f32 v20, v23, v21
	s_delay_alu instid0(VALU_DEP_4) | instskip(SKIP_2) | instid1(VALU_DEP_4)
	v_fmamk_f32 v45, v15, 0x3f5db3d7, v7
	v_fmac_f32_e32 v7, 0xbf5db3d7, v15
	v_add_f32_e32 v15, v44, v22
	v_dual_add_f32 v23, v60, v23 :: v_dual_fmac_f32 v60, -0.5, v20
	v_sub_f32_e32 v12, v12, v14
	s_delay_alu instid0(VALU_DEP_3) | instskip(NEXT) | instid1(VALU_DEP_3)
	v_dual_add_f32 v14, v61, v44 :: v_dual_fmac_f32 v61, -0.5, v15
	v_add_f32_e32 v15, v23, v21
	v_sub_f32_e32 v13, v13, v17
	s_delay_alu instid0(VALU_DEP_3) | instskip(SKIP_1) | instid1(VALU_DEP_3)
	v_dual_fmamk_f32 v17, v12, 0x3f5db3d7, v60 :: v_dual_add_f32 v68, v14, v22
	v_fmac_f32_e32 v60, 0xbf5db3d7, v12
	v_fmamk_f32 v67, v13, 0x3f5db3d7, v61
	v_fmac_f32_e32 v61, 0xbf5db3d7, v13
	ds_store_2addr_b32 v1, v16, v41 offset1:48
	ds_store_b32 v1, v8 offset:384
	ds_store_2addr_b32 v3, v40, v50 offset1:48
	ds_store_b32 v3, v10 offset:384
	;; [unrolled: 2-line block ×6, first 2 shown]
	global_wb scope:SCOPE_SE
	s_wait_dscnt 0x0
	s_barrier_signal -1
	s_barrier_wait -1
	global_inv scope:SCOPE_SE
	ds_load_2addr_b32 v[40:41], v43 offset1:144
	ds_load_2addr_b32 v[44:45], v0 offset0:72 offset1:160
	v_add_nc_u32_e32 v0, v42, v47
	ds_load_2addr_b32 v[46:47], v51 offset0:88 offset1:176
	ds_load_2addr_b32 v[50:51], v48 offset0:104 offset1:192
	;; [unrolled: 1-line block ×4, first 2 shown]
	ds_load_b32 v74, v0
	ds_load_b32 v76, v43 offset:3680
	s_and_saveexec_b32 s1, s0
	s_cbranch_execz .LBB0_17
; %bb.16:
	ds_load_b32 v67, v43 offset:1600
	ds_load_b32 v69, v43 offset:2752
	;; [unrolled: 1-line block ×5, first 2 shown]
	ds_load_b32 v60, v75
	ds_load_b32 v71, v43 offset:3904
.LBB0_17:
	s_wait_alu 0xfffe
	s_or_b32 exec_lo, exec_lo, s1
	s_and_saveexec_b32 s1, vcc_lo
	s_cbranch_execz .LBB0_20
; %bb.18:
	v_mul_u32_u24_e32 v0, 6, v56
	v_mul_i32_i24_e32 v42, 6, v54
	v_mul_lo_u32 v54, s2, v27
	v_mul_hi_u32 v75, 0x38e38e39, v56
	v_lshlrev_b64_e32 v[24:25], 3, v[24:25]
	v_dual_mov_b32 v43, 0 :: v_dual_lshlrev_b32 v0, 3, v0
	s_clause 0x2
	global_load_b128 v[12:15], v0, s[4:5] offset:1168
	global_load_b128 v[20:23], v0, s[4:5] offset:1152
	;; [unrolled: 1-line block ×3, first 2 shown]
	v_lshlrev_b64_e32 v[0:1], 3, v[42:43]
	v_mul_lo_u32 v42, s3, v26
	v_mad_co_u64_u32 v[26:27], null, s2, v26, 0
	s_delay_alu instid0(VALU_DEP_3) | instskip(SKIP_1) | instid1(VALU_DEP_4)
	v_add_co_u32 v4, vcc_lo, s4, v0
	s_wait_alu 0xfffd
	v_add_co_ci_u32_e32 v5, vcc_lo, s5, v1, vcc_lo
	s_delay_alu instid0(VALU_DEP_3)
	v_add3_u32 v27, v27, v54, v42
	s_clause 0x2
	global_load_b128 v[8:11], v[4:5], off offset:1152
	global_load_b128 v[0:3], v[4:5], off offset:1136
	;; [unrolled: 1-line block ×3, first 2 shown]
	v_lshrrev_b32_e32 v42, 5, v75
	v_lshlrev_b64_e32 v[26:27], 3, v[26:27]
	s_delay_alu instid0(VALU_DEP_2) | instskip(NEXT) | instid1(VALU_DEP_2)
	v_mul_lo_u32 v42, 0x90, v42
	v_add_co_u32 v26, vcc_lo, s10, v26
	s_wait_alu 0xfffd
	s_delay_alu instid0(VALU_DEP_3) | instskip(NEXT) | instid1(VALU_DEP_2)
	v_add_co_ci_u32_e32 v75, vcc_lo, s11, v27, vcc_lo
	v_add_co_u32 v27, vcc_lo, v26, v24
	s_delay_alu instid0(VALU_DEP_4) | instskip(SKIP_1) | instid1(VALU_DEP_3)
	v_sub_nc_u32_e32 v42, v56, v42
	s_wait_alu 0xfffd
	v_add_co_ci_u32_e32 v75, vcc_lo, v75, v25, vcc_lo
	s_delay_alu instid0(VALU_DEP_2) | instskip(SKIP_2) | instid1(VALU_DEP_3)
	v_mad_co_u64_u32 v[78:79], null, s16, v42, 0
	v_add_nc_u32_e32 v55, 56, v56
	v_add_nc_u32_e32 v98, 0x1b0, v42
	v_dual_mov_b32 v26, v79 :: v_dual_add_nc_u32 v101, 0x360, v42
	s_delay_alu instid0(VALU_DEP_3) | instskip(NEXT) | instid1(VALU_DEP_3)
	v_mul_hi_u32 v77, 0x38e38e39, v55
	v_mad_co_u64_u32 v[84:85], null, s16, v98, 0
	v_add_nc_u32_e32 v97, 0x120, v42
	s_delay_alu instid0(VALU_DEP_4) | instskip(SKIP_2) | instid1(VALU_DEP_1)
	v_mad_co_u64_u32 v[92:93], null, s17, v42, v[26:27]
	v_mad_co_u64_u32 v[90:91], null, s16, v101, 0
	v_lshrrev_b32_e32 v54, 5, v77
	v_mul_lo_u32 v77, 0x90, v54
	s_delay_alu instid0(VALU_DEP_1) | instskip(NEXT) | instid1(VALU_DEP_1)
	v_sub_nc_u32_e32 v24, v55, v77
	v_mad_co_u64_u32 v[24:25], null, 0x3f0, v54, v[24:25]
	v_mov_b32_e32 v54, v85
	v_mad_co_u64_u32 v[82:83], null, s16, v97, 0
	v_add_nc_u32_e32 v95, 0x90, v42
	s_delay_alu instid0(VALU_DEP_4) | instskip(NEXT) | instid1(VALU_DEP_3)
	v_mad_co_u64_u32 v[93:94], null, s16, v24, 0
	v_dual_mov_b32 v26, v83 :: v_dual_add_nc_u32 v99, 0x240, v42
	s_delay_alu instid0(VALU_DEP_3) | instskip(SKIP_1) | instid1(VALU_DEP_3)
	v_mad_co_u64_u32 v[80:81], null, s16, v95, 0
	v_add_nc_u32_e32 v108, 0x120, v24
	v_mad_co_u64_u32 v[86:87], null, s16, v99, 0
	v_add_nc_u32_e32 v100, 0x2d0, v42
	v_add_nc_u32_e32 v42, 0x2d0, v24
	s_delay_alu instid0(VALU_DEP_4) | instskip(SKIP_4) | instid1(VALU_DEP_4)
	v_mad_co_u64_u32 v[103:104], null, s16, v108, 0
	v_mov_b32_e32 v25, v81
	v_mov_b32_e32 v81, v91
	;; [unrolled: 1-line block ×3, first 2 shown]
	v_mad_co_u64_u32 v[88:89], null, s16, v100, 0
	v_mad_co_u64_u32 v[95:96], null, s17, v95, v[25:26]
	;; [unrolled: 1-line block ×3, first 2 shown]
	s_delay_alu instid0(VALU_DEP_4) | instskip(NEXT) | instid1(VALU_DEP_4)
	v_mad_co_u64_u32 v[97:98], null, s17, v98, v[54:55]
	v_mov_b32_e32 v79, v89
	v_mad_co_u64_u32 v[98:99], null, s17, v99, v[55:56]
	v_add_nc_u32_e32 v107, 0x90, v24
	v_mov_b32_e32 v83, v96
	s_delay_alu instid0(VALU_DEP_4) | instskip(SKIP_4) | instid1(VALU_DEP_4)
	v_mad_co_u64_u32 v[99:100], null, s17, v100, v[79:80]
	v_dual_mov_b32 v79, v92 :: v_dual_mov_b32 v92, v94
	v_mad_co_u64_u32 v[100:101], null, s17, v101, v[81:82]
	v_mov_b32_e32 v81, v95
	v_mov_b32_e32 v85, v97
	v_mad_co_u64_u32 v[95:96], null, s17, v24, v[92:93]
	v_mov_b32_e32 v92, v104
	v_mad_co_u64_u32 v[101:102], null, s16, v107, 0
	v_add_nc_u32_e32 v109, 0x1b0, v24
	v_mov_b32_e32 v87, v98
	v_mad_co_u64_u32 v[105:106], null, s16, v42, 0
	s_delay_alu instid0(VALU_DEP_4) | instskip(NEXT) | instid1(VALU_DEP_1)
	v_mov_b32_e32 v94, v102
	v_mad_co_u64_u32 v[96:97], null, s17, v107, v[94:95]
	v_dual_mov_b32 v94, v95 :: v_dual_add_nc_u32 v77, 0x240, v24
	v_mad_co_u64_u32 v[97:98], null, s17, v108, v[92:93]
	v_mad_co_u64_u32 v[54:55], null, s16, v109, 0
	s_delay_alu instid0(VALU_DEP_4) | instskip(NEXT) | instid1(VALU_DEP_4)
	v_mov_b32_e32 v102, v96
	v_lshlrev_b64_e32 v[92:93], 3, v[93:94]
	v_mad_co_u64_u32 v[25:26], null, s16, v77, 0
	v_mov_b32_e32 v104, v97
	s_delay_alu instid0(VALU_DEP_4) | instskip(SKIP_1) | instid1(VALU_DEP_3)
	v_lshlrev_b64_e32 v[94:95], 3, v[101:102]
	v_lshlrev_b64_e32 v[78:79], 3, v[78:79]
	;; [unrolled: 1-line block ×3, first 2 shown]
	s_delay_alu instid0(VALU_DEP_2) | instskip(SKIP_1) | instid1(VALU_DEP_3)
	v_add_co_u32 v78, vcc_lo, v27, v78
	s_wait_alu 0xfffd
	v_add_co_ci_u32_e32 v79, vcc_lo, v75, v79, vcc_lo
	s_wait_loadcnt_dscnt 0x502
	v_mul_f32_e32 v98, v49, v15
	s_wait_loadcnt 0x3
	v_dual_mul_f32 v15, v35, v15 :: v_dual_mul_f32 v102, v41, v17
	v_dual_mov_b32 v91, v100 :: v_dual_mul_f32 v100, v51, v23
	s_delay_alu instid0(VALU_DEP_3) | instskip(NEXT) | instid1(VALU_DEP_3)
	v_fmac_f32_e32 v98, v35, v14
	v_dual_mov_b32 v89, v99 :: v_dual_fmac_f32 v102, v29, v16
	v_mul_f32_e32 v99, v53, v13
	v_mul_f32_e32 v13, v39, v13
	;; [unrolled: 1-line block ×4, first 2 shown]
	v_add_f32_e32 v35, v102, v98
	v_mul_f32_e32 v17, v29, v17
	v_fma_f32 v14, v49, v14, -v15
	v_fmac_f32_e32 v103, v31, v18
	v_fmac_f32_e32 v100, v37, v22
	v_lshlrev_b64_e32 v[80:81], 3, v[80:81]
	v_fma_f32 v16, v41, v16, -v17
	v_mul_f32_e32 v23, v37, v23
	v_fma_f32 v17, v45, v18, -v19
	s_wait_loadcnt 0x2
	v_dual_mul_f32 v18, v52, v11 :: v_dual_fmac_f32 v99, v39, v12
	v_fma_f32 v12, v53, v12, -v13
	v_mul_f32_e32 v101, v47, v21
	s_delay_alu instid0(VALU_DEP_3) | instskip(SKIP_3) | instid1(VALU_DEP_4)
	v_dual_mul_f32 v21, v33, v21 :: v_dual_fmac_f32 v18, v38, v10
	v_add_f32_e32 v41, v16, v14
	v_sub_f32_e32 v14, v16, v14
	v_fma_f32 v13, v51, v22, -v23
	v_fma_f32 v15, v47, v20, -v21
	s_wait_loadcnt_dscnt 0x0
	v_mul_f32_e32 v22, v76, v7
	v_add_f32_e32 v16, v17, v12
	v_dual_fmac_f32 v101, v33, v20 :: v_dual_mul_f32 v20, v44, v1
	v_add_f32_e32 v33, v13, v15
	v_sub_f32_e32 v13, v13, v15
	v_sub_f32_e32 v15, v102, v98
	v_dual_fmac_f32 v22, v73, v6 :: v_dual_sub_f32 v37, v103, v99
	v_mul_f32_e32 v19, v50, v9
	v_dual_mul_f32 v21, v46, v3 :: v_dual_sub_f32 v12, v17, v12
	v_mul_f32_e32 v11, v38, v11
	v_mul_f32_e32 v1, v30, v1
	s_delay_alu instid0(VALU_DEP_4) | instskip(SKIP_3) | instid1(VALU_DEP_4)
	v_fmac_f32_e32 v19, v36, v8
	v_dual_mul_f32 v9, v36, v9 :: v_dual_fmac_f32 v20, v30, v0
	v_mul_f32_e32 v7, v73, v7
	v_sub_f32_e32 v36, v37, v15
	v_sub_f32_e32 v38, v18, v19
	s_delay_alu instid0(VALU_DEP_4) | instskip(SKIP_4) | instid1(VALU_DEP_4)
	v_fma_f32 v8, v50, v8, -v9
	v_mul_f32_e32 v23, v48, v5
	v_mul_f32_e32 v5, v34, v5
	v_dual_sub_f32 v9, v33, v16 :: v_dual_add_f32 v18, v18, v19
	v_lshlrev_b64_e32 v[82:83], 3, v[82:83]
	v_fmac_f32_e32 v23, v34, v4
	v_sub_f32_e32 v34, v13, v12
	v_fma_f32 v10, v52, v10, -v11
	v_mul_f32_e32 v3, v32, v3
	v_dual_add_f32 v11, v41, v16 :: v_dual_sub_f32 v16, v16, v41
	v_dual_fmac_f32 v21, v32, v2 :: v_dual_sub_f32 v32, v14, v13
	v_sub_f32_e32 v29, v100, v101
	v_dual_add_f32 v13, v13, v12 :: v_dual_sub_f32 v12, v12, v14
	v_fma_f32 v0, v44, v0, -v1
	v_fma_f32 v1, v48, v4, -v5
	s_delay_alu instid0(VALU_DEP_4)
	v_sub_f32_e32 v4, v29, v37
	v_add_f32_e32 v5, v29, v37
	v_sub_f32_e32 v37, v20, v22
	v_add_f32_e32 v20, v20, v22
	v_fma_f32 v6, v76, v6, -v7
	v_add_f32_e32 v31, v100, v101
	v_sub_f32_e32 v7, v41, v33
	v_dual_add_f32 v13, v14, v13 :: v_dual_mul_f32 v14, 0xbf5ff5aa, v36
	s_delay_alu instid0(VALU_DEP_4)
	v_add_f32_e32 v41, v0, v6
	v_sub_f32_e32 v6, v0, v6
	v_sub_f32_e32 v0, v10, v8
	v_fma_f32 v2, v46, v2, -v3
	v_dual_add_f32 v44, v10, v8 :: v_dual_add_f32 v19, v21, v23
	v_mul_f32_e32 v22, 0xbf5ff5aa, v12
	s_delay_alu instid0(VALU_DEP_4) | instskip(NEXT) | instid1(VALU_DEP_4)
	v_sub_f32_e32 v48, v6, v0
	v_add_f32_e32 v45, v2, v1
	v_dual_sub_f32 v1, v2, v1 :: v_dual_mul_f32 v2, 0x3f08b237, v4
	v_sub_f32_e32 v17, v35, v31
	v_sub_f32_e32 v46, v18, v19
	v_add_f32_e32 v47, v20, v19
	s_delay_alu instid0(VALU_DEP_4)
	v_add_f32_e32 v49, v0, v1
	v_mul_f32_e32 v8, 0x3d64c772, v9
	v_mul_f32_e32 v10, 0x3f4a47b2, v17
	v_sub_f32_e32 v3, v15, v29
	v_add_f32_e32 v4, v15, v5
	v_sub_f32_e32 v19, v19, v20
	v_fma_f32 v22, 0x3eae86e6, v32, -v22
	v_add_f32_e32 v9, v33, v11
	v_fma_f32 v14, 0x3eae86e6, v3, -v14
	v_lshlrev_b64_e32 v[84:85], 3, v[84:85]
	v_add_co_u32 v80, vcc_lo, v27, v80
	s_wait_alu 0xfffd
	v_add_co_ci_u32_e32 v81, vcc_lo, v75, v81, vcc_lo
	v_dual_fmac_f32 v14, 0xbee1c552, v4 :: v_dual_add_f32 v39, v103, v99
	v_lshlrev_b64_e32 v[86:87], 3, v[86:87]
	v_add_co_u32 v82, vcc_lo, v27, v82
	s_wait_alu 0xfffd
	v_add_co_ci_u32_e32 v83, vcc_lo, v75, v83, vcc_lo
	v_add_f32_e32 v30, v35, v39
	v_sub_f32_e32 v29, v31, v39
	v_sub_f32_e32 v35, v39, v35
	;; [unrolled: 1-line block ×3, first 2 shown]
	v_mul_f32_e32 v21, 0x3f08b237, v34
	v_add_f32_e32 v15, v31, v30
	v_mul_f32_e32 v11, 0x3d64c772, v29
	v_sub_f32_e32 v23, v37, v38
	v_sub_f32_e32 v29, v38, v39
	v_dual_add_f32 v30, v38, v39 :: v_dual_sub_f32 v31, v41, v44
	v_add_f32_e32 v34, v41, v45
	v_sub_f32_e32 v38, v20, v18
	v_sub_f32_e32 v20, v1, v6
	v_dual_add_f32 v18, v18, v47 :: v_dual_sub_f32 v33, v44, v45
	v_add_f32_e32 v6, v6, v49
	v_sub_f32_e32 v41, v45, v41
	v_sub_f32_e32 v45, v0, v1
	v_add_f32_e32 v0, v28, v15
	v_fmamk_f32 v28, v3, 0xbeae86e6, v2
	v_mul_f32_e32 v5, 0x3f4a47b2, v7
	v_fmamk_f32 v7, v7, 0x3f4a47b2, v8
	v_fma_f32 v8, 0x3f3bfb3b, v16, -v8
	v_lshlrev_b64_e32 v[88:89], 3, v[88:89]
	v_fmac_f32_e32 v28, 0xbee1c552, v4
	v_fma_f32 v3, 0xbf3bfb3b, v16, -v5
	v_fma_f32 v16, 0xbf5ff5aa, v12, -v21
	v_add_f32_e32 v12, v37, v30
	v_add_f32_e32 v30, v44, v34
	v_mul_f32_e32 v34, 0x3f08b237, v45
	v_fma_f32 v5, 0xbf3bfb3b, v35, -v10
	v_fma_f32 v10, 0xbf5ff5aa, v36, -v2
	v_mul_f32_e32 v36, 0xbf5ff5aa, v20
	v_add_co_u32 v84, vcc_lo, v27, v84
	v_fmamk_f32 v44, v48, 0xbeae86e6, v34
	v_fmac_f32_e32 v22, 0xbee1c552, v13
	v_add_f32_e32 v1, v40, v9
	v_fmac_f32_e32 v16, 0xbee1c552, v13
	v_fmamk_f32 v15, v15, 0xbf955555, v0
	v_fmac_f32_e32 v10, 0xbee1c552, v4
	v_fma_f32 v20, 0xbf5ff5aa, v20, -v34
	v_fmamk_f32 v9, v9, 0xbf955555, v1
	global_store_b64 v[78:79], v[0:1], off
	v_add_f32_e32 v1, v74, v30
	v_add_f32_e32 v0, v72, v18
	v_fma_f32 v2, 0x3f3bfb3b, v35, -v11
	v_add_f32_e32 v4, v7, v9
	v_fmamk_f32 v40, v32, 0xbeae86e6, v21
	v_fmamk_f32 v30, v30, 0xbf955555, v1
	;; [unrolled: 1-line block ×3, first 2 shown]
	v_mul_f32_e32 v21, 0x3f4a47b2, v31
	v_dual_fmamk_f32 v17, v17, 0x3f4a47b2, v11 :: v_dual_mul_f32 v32, 0x3f4a47b2, v38
	v_fmac_f32_e32 v44, 0xbee1c552, v6
	v_fmac_f32_e32 v20, 0xbee1c552, v6
	s_delay_alu instid0(VALU_DEP_4)
	v_fma_f32 v21, 0xbf3bfb3b, v41, -v21
	v_mul_f32_e32 v11, 0x3f08b237, v29
	v_mul_f32_e32 v29, 0x3d64c772, v33
	;; [unrolled: 1-line block ×3, first 2 shown]
	v_fma_f32 v32, 0xbf3bfb3b, v19, -v32
	v_dual_add_f32 v17, v17, v15 :: v_dual_add_f32 v8, v8, v9
	s_wait_alu 0xfffd
	v_add_co_ci_u32_e32 v85, vcc_lo, v75, v85, vcc_lo
	v_fmamk_f32 v38, v38, 0x3f4a47b2, v33
	v_fma_f32 v19, 0x3f3bfb3b, v19, -v33
	v_add_f32_e32 v33, v5, v15
	v_add_f32_e32 v15, v2, v15
	v_sub_f32_e32 v39, v39, v37
	v_fmamk_f32 v37, v23, 0xbeae86e6, v11
	v_lshlrev_b64_e32 v[90:91], 3, v[90:91]
	v_add_co_u32 v86, vcc_lo, v27, v86
	s_delay_alu instid0(VALU_DEP_4)
	v_mul_f32_e32 v35, 0xbf5ff5aa, v39
	v_fmac_f32_e32 v40, 0xbee1c552, v13
	s_wait_alu 0xfffd
	v_add_co_ci_u32_e32 v87, vcc_lo, v75, v87, vcc_lo
	v_add_co_u32 v88, vcc_lo, v27, v88
	v_fma_f32 v23, 0x3eae86e6, v23, -v35
	v_fma_f32 v35, 0x3eae86e6, v48, -v36
	s_wait_alu 0xfffd
	v_add_co_ci_u32_e32 v89, vcc_lo, v75, v89, vcc_lo
	v_add_co_u32 v90, vcc_lo, v27, v90
	s_delay_alu instid0(VALU_DEP_3)
	v_dual_fmac_f32 v35, 0xbee1c552, v6 :: v_dual_add_f32 v6, v16, v15
	v_fma_f32 v36, 0xbf5ff5aa, v39, -v11
	v_add_f32_e32 v11, v3, v9
	v_fmamk_f32 v31, v31, 0x3f4a47b2, v29
	v_fmac_f32_e32 v37, 0xbee1c552, v12
	v_fmac_f32_e32 v23, 0xbee1c552, v12
	;; [unrolled: 1-line block ×3, first 2 shown]
	v_sub_f32_e32 v13, v4, v28
	v_dual_add_f32 v12, v40, v17 :: v_dual_add_f32 v5, v14, v11
	v_sub_f32_e32 v7, v8, v10
	v_add_f32_e32 v9, v10, v8
	v_dual_sub_f32 v11, v11, v14 :: v_dual_add_f32 v10, v22, v33
	s_wait_alu 0xfffd
	v_add_co_ci_u32_e32 v91, vcc_lo, v75, v91, vcc_lo
	v_sub_f32_e32 v8, v15, v16
	v_add_co_u32 v92, vcc_lo, v27, v92
	v_dual_add_f32 v3, v28, v4 :: v_dual_sub_f32 v4, v33, v22
	s_wait_alu 0xfffd
	v_add_co_ci_u32_e32 v93, vcc_lo, v75, v93, vcc_lo
	v_dual_sub_f32 v2, v17, v40 :: v_dual_add_f32 v15, v38, v18
	s_clause 0x6
	global_store_b64 v[80:81], v[12:13], off
	global_store_b64 v[82:83], v[10:11], off
	;; [unrolled: 1-line block ×7, first 2 shown]
	v_mov_b32_e32 v0, v106
	v_add_f32_e32 v14, v31, v30
	v_add_co_u32 v94, vcc_lo, v27, v94
	v_add_f32_e32 v17, v32, v18
	v_add_f32_e32 v18, v19, v18
	s_wait_alu 0xfffd
	v_add_co_ci_u32_e32 v95, vcc_lo, v75, v95, vcc_lo
	v_dual_sub_f32 v8, v14, v37 :: v_dual_add_f32 v7, v44, v15
	s_delay_alu instid0(VALU_DEP_3)
	v_add_f32_e32 v5, v20, v18
	v_sub_f32_e32 v9, v18, v20
	v_add_nc_u32_e32 v18, 0x360, v24
	v_add_f32_e32 v16, v21, v30
	global_store_b64 v[94:95], v[7:8], off
	v_mad_co_u64_u32 v[7:8], null, s17, v109, v[55:56]
	v_add_f32_e32 v2, v37, v14
	v_mad_co_u64_u32 v[13:14], null, s17, v77, v[26:27]
	v_sub_f32_e32 v1, v15, v44
	v_mad_co_u64_u32 v[14:15], null, s16, v18, 0
	v_add_f32_e32 v4, v23, v16
	v_sub_f32_e32 v12, v16, v23
	v_add_co_u32 v16, vcc_lo, v27, v96
	v_sub_f32_e32 v3, v17, v35
	v_add_f32_e32 v11, v35, v17
	s_wait_alu 0xfffd
	v_add_co_ci_u32_e32 v17, vcc_lo, v75, v97, vcc_lo
	v_mov_b32_e32 v55, v7
	v_mad_co_u64_u32 v[7:8], null, s17, v42, v[0:1]
	v_mov_b32_e32 v0, v15
	v_mov_b32_e32 v26, v13
	global_store_b64 v[16:17], v[11:12], off
	v_lshlrev_b64_e32 v[11:12], 3, v[54:55]
	v_fma_f32 v29, 0x3f3bfb3b, v41, -v29
	v_mad_co_u64_u32 v[15:16], null, s17, v18, v[0:1]
	v_mov_b32_e32 v106, v7
	v_lshlrev_b64_e32 v[16:17], 3, v[25:26]
	v_add_co_u32 v7, vcc_lo, v27, v11
	s_wait_alu 0xfffd
	v_add_co_ci_u32_e32 v8, vcc_lo, v75, v12, vcc_lo
	v_lshlrev_b64_e32 v[11:12], 3, v[105:106]
	s_delay_alu instid0(VALU_DEP_4) | instskip(SKIP_3) | instid1(VALU_DEP_4)
	v_add_co_u32 v16, vcc_lo, v27, v16
	v_lshlrev_b64_e32 v[13:14], 3, v[14:15]
	s_wait_alu 0xfffd
	v_add_co_ci_u32_e32 v17, vcc_lo, v75, v17, vcc_lo
	v_add_co_u32 v11, vcc_lo, v27, v11
	v_dual_add_f32 v21, v29, v30 :: v_dual_add_nc_u32 v0, 0x70, v56
	s_wait_alu 0xfffd
	v_add_co_ci_u32_e32 v12, vcc_lo, v75, v12, vcc_lo
	v_add_co_u32 v13, vcc_lo, v27, v13
	s_wait_alu 0xfffd
	v_add_co_ci_u32_e32 v14, vcc_lo, v75, v14, vcc_lo
	v_add_f32_e32 v10, v36, v21
	v_cmp_gt_u32_e32 vcc_lo, 0x90, v0
	v_sub_f32_e32 v6, v21, v36
	s_clause 0x3
	global_store_b64 v[7:8], v[9:10], off
	global_store_b64 v[16:17], v[5:6], off
	;; [unrolled: 1-line block ×4, first 2 shown]
	s_and_b32 exec_lo, exec_lo, vcc_lo
	s_cbranch_execz .LBB0_20
; %bb.19:
	v_subrev_nc_u32_e32 v1, 32, v56
	v_mad_co_u64_u32 v[13:14], null, s16, v0, 0
	s_delay_alu instid0(VALU_DEP_2) | instskip(NEXT) | instid1(VALU_DEP_1)
	v_cndmask_b32_e64 v1, v1, v57, s0
	v_mul_i32_i24_e32 v42, 6, v1
	s_delay_alu instid0(VALU_DEP_1) | instskip(NEXT) | instid1(VALU_DEP_1)
	v_lshlrev_b64_e32 v[1:2], 3, v[42:43]
	v_add_co_u32 v9, vcc_lo, s4, v1
	s_wait_alu 0xfffd
	s_delay_alu instid0(VALU_DEP_2)
	v_add_co_ci_u32_e32 v10, vcc_lo, s5, v2, vcc_lo
	s_clause 0x2
	global_load_b128 v[1:4], v[9:10], off offset:1136
	global_load_b128 v[5:8], v[9:10], off offset:1152
	;; [unrolled: 1-line block ×3, first 2 shown]
	v_add_nc_u32_e32 v30, 0x100, v56
	v_add_nc_u32_e32 v32, 0x220, v56
	;; [unrolled: 1-line block ×3, first 2 shown]
	s_delay_alu instid0(VALU_DEP_3) | instskip(SKIP_1) | instid1(VALU_DEP_4)
	v_mad_co_u64_u32 v[15:16], null, s16, v30, 0
	v_add_nc_u32_e32 v31, 0x190, v56
	v_mad_co_u64_u32 v[19:20], null, s16, v32, 0
	v_add_nc_u32_e32 v35, 0x3d0, v56
	v_mad_co_u64_u32 v[23:24], null, s16, v34, 0
	v_mad_co_u64_u32 v[28:29], null, s17, v0, v[14:15]
	v_mov_b32_e32 v0, v16
	v_mov_b32_e32 v16, v20
	v_mad_co_u64_u32 v[17:18], null, s16, v31, 0
	v_add_nc_u32_e32 v33, 0x2b0, v56
	v_mad_co_u64_u32 v[25:26], null, s16, v35, 0
	v_mov_b32_e32 v20, v24
	s_delay_alu instid0(VALU_DEP_4) | instskip(NEXT) | instid1(VALU_DEP_4)
	v_mov_b32_e32 v14, v18
	v_mad_co_u64_u32 v[21:22], null, s16, v33, 0
	s_delay_alu instid0(VALU_DEP_1)
	v_mov_b32_e32 v18, v22
	v_mov_b32_e32 v22, v26
	s_wait_loadcnt 0x2
	v_mad_co_u64_u32 v[29:30], null, s17, v30, v[0:1]
	v_mul_f32_e32 v0, v68, v2
	v_mul_f32_e32 v2, v62, v2
	v_mad_co_u64_u32 v[30:31], null, s17, v31, v[14:15]
	v_mad_co_u64_u32 v[31:32], null, s17, v32, v[16:17]
	s_delay_alu instid0(VALU_DEP_4) | instskip(NEXT) | instid1(VALU_DEP_4)
	v_fmac_f32_e32 v0, v62, v1
	v_fma_f32 v1, v68, v1, -v2
	v_mov_b32_e32 v14, v28
	v_mov_b32_e32 v16, v29
	v_mad_co_u64_u32 v[32:33], null, s17, v33, v[18:19]
	v_mov_b32_e32 v18, v30
	s_delay_alu instid0(VALU_DEP_4)
	v_lshlrev_b64_e32 v[13:14], 3, v[13:14]
	s_wait_loadcnt 0x1
	v_mul_f32_e32 v29, v69, v8
	v_mad_co_u64_u32 v[33:34], null, s17, v34, v[20:21]
	v_lshlrev_b64_e32 v[15:16], 3, v[15:16]
	v_mov_b32_e32 v20, v31
	s_wait_loadcnt 0x0
	v_mul_f32_e32 v31, v71, v12
	v_mad_co_u64_u32 v[34:35], null, s17, v35, v[22:23]
	v_lshlrev_b64_e32 v[17:18], 3, v[17:18]
	v_add_co_u32 v13, vcc_lo, v27, v13
	v_mov_b32_e32 v22, v32
	s_wait_alu 0xfffd
	v_add_co_ci_u32_e32 v14, vcc_lo, v75, v14, vcc_lo
	v_lshlrev_b64_e32 v[19:20], 3, v[19:20]
	v_add_co_u32 v15, vcc_lo, v27, v15
	v_mov_b32_e32 v24, v33
	s_wait_alu 0xfffd
	v_add_co_ci_u32_e32 v16, vcc_lo, v75, v16, vcc_lo
	;; [unrolled: 5-line block ×3, first 2 shown]
	v_lshlrev_b64_e32 v[23:24], 3, v[23:24]
	v_add_co_u32 v19, vcc_lo, v27, v19
	s_wait_alu 0xfffd
	v_add_co_ci_u32_e32 v20, vcc_lo, v75, v20, vcc_lo
	v_lshlrev_b64_e32 v[25:26], 3, v[25:26]
	v_add_co_u32 v21, vcc_lo, v27, v21
	s_wait_alu 0xfffd
	v_add_co_ci_u32_e32 v22, vcc_lo, v75, v22, vcc_lo
	v_add_co_u32 v23, vcc_lo, v27, v23
	s_wait_alu 0xfffd
	v_add_co_ci_u32_e32 v24, vcc_lo, v75, v24, vcc_lo
	v_add_co_u32 v25, vcc_lo, v27, v25
	v_mul_f32_e32 v27, v67, v4
	v_mul_f32_e32 v4, v63, v4
	v_mul_f32_e32 v28, v61, v6
	v_mul_f32_e32 v6, v59, v6
	v_mul_f32_e32 v30, v70, v10
	v_dual_mul_f32 v10, v65, v10 :: v_dual_fmac_f32 v27, v63, v3
	v_fma_f32 v2, v67, v3, -v4
	v_fmac_f32_e32 v28, v59, v5
	v_fma_f32 v3, v61, v5, -v6
	v_fmac_f32_e32 v29, v64, v7
	v_fma_f32 v6, v70, v9, -v10
	v_dual_fmac_f32 v30, v65, v9 :: v_dual_fmac_f32 v31, v66, v11
	s_wait_alu 0xfffd
	v_add_co_ci_u32_e32 v26, vcc_lo, v75, v26, vcc_lo
	s_delay_alu instid0(VALU_DEP_3)
	v_add_f32_e32 v9, v2, v6
	v_sub_f32_e32 v2, v2, v6
	v_mul_f32_e32 v12, v66, v12
	v_add_f32_e32 v6, v28, v29
	v_mul_f32_e32 v8, v64, v8
	v_sub_f32_e32 v10, v27, v30
	s_delay_alu instid0(VALU_DEP_4) | instskip(NEXT) | instid1(VALU_DEP_3)
	v_fma_f32 v4, v71, v11, -v12
	v_fma_f32 v5, v69, v7, -v8
	s_delay_alu instid0(VALU_DEP_2) | instskip(SKIP_1) | instid1(VALU_DEP_3)
	v_add_f32_e32 v8, v1, v4
	v_sub_f32_e32 v1, v1, v4
	v_add_f32_e32 v11, v3, v5
	v_dual_sub_f32 v3, v5, v3 :: v_dual_add_f32 v4, v27, v30
	s_delay_alu instid0(VALU_DEP_4) | instskip(NEXT) | instid1(VALU_DEP_2)
	v_add_f32_e32 v27, v9, v8
	v_sub_f32_e32 v33, v3, v2
	v_add_f32_e32 v7, v0, v31
	v_dual_sub_f32 v0, v0, v31 :: v_dual_add_f32 v31, v3, v2
	v_sub_f32_e32 v2, v2, v1
	s_delay_alu instid0(VALU_DEP_4) | instskip(NEXT) | instid1(VALU_DEP_4)
	v_mul_f32_e32 v33, 0x3f08b237, v33
	v_add_f32_e32 v5, v4, v7
	v_sub_f32_e32 v3, v1, v3
	s_delay_alu instid0(VALU_DEP_4)
	v_dual_mul_f32 v35, 0xbf5ff5aa, v2 :: v_dual_sub_f32 v12, v29, v28
	v_sub_f32_e32 v29, v9, v8
	v_dual_sub_f32 v9, v11, v9 :: v_dual_sub_f32 v28, v4, v7
	v_dual_sub_f32 v7, v7, v6 :: v_dual_sub_f32 v4, v6, v4
	v_dual_add_f32 v5, v6, v5 :: v_dual_add_f32 v6, v11, v27
	v_add_f32_e32 v27, v31, v1
	s_delay_alu instid0(VALU_DEP_4) | instskip(NEXT) | instid1(VALU_DEP_4)
	v_dual_mul_f32 v31, 0x3d64c772, v9 :: v_dual_sub_f32 v32, v12, v10
	v_mul_f32_e32 v7, 0x3f4a47b2, v7
	v_sub_f32_e32 v8, v8, v11
	v_add_f32_e32 v1, v60, v6
	s_delay_alu instid0(VALU_DEP_4) | instskip(SKIP_2) | instid1(VALU_DEP_2)
	v_fma_f32 v31, 0x3f3bfb3b, v29, -v31
	v_add_f32_e32 v30, v12, v10
	v_mul_f32_e32 v32, 0x3f08b237, v32
	v_add_f32_e32 v11, v30, v0
	v_mul_f32_e32 v30, 0x3d64c772, v4
	v_fmamk_f32 v4, v4, 0x3d64c772, v7
	v_sub_f32_e32 v10, v10, v0
	v_fma_f32 v7, 0xbf3bfb3b, v28, -v7
	s_delay_alu instid0(VALU_DEP_4) | instskip(NEXT) | instid1(VALU_DEP_3)
	v_fma_f32 v30, 0x3f3bfb3b, v28, -v30
	v_mul_f32_e32 v34, 0xbf5ff5aa, v10
	v_fma_f32 v10, 0xbf5ff5aa, v10, -v32
	s_delay_alu instid0(VALU_DEP_1) | instskip(SKIP_2) | instid1(VALU_DEP_2)
	v_fmac_f32_e32 v10, 0xbee1c552, v11
	v_sub_f32_e32 v12, v0, v12
	v_add_f32_e32 v0, v58, v5
	v_fmamk_f32 v28, v12, 0xbeae86e6, v32
	v_fma_f32 v32, 0xbf5ff5aa, v2, -v33
	s_delay_alu instid0(VALU_DEP_3) | instskip(SKIP_4) | instid1(VALU_DEP_2)
	v_fmamk_f32 v2, v5, 0xbf955555, v0
	global_store_b64 v[13:14], v[0:1], off
	v_fmac_f32_e32 v28, 0xbee1c552, v11
	v_mul_f32_e32 v8, 0x3f4a47b2, v8
	v_fmac_f32_e32 v32, 0xbee1c552, v27
	v_fmamk_f32 v9, v9, 0x3d64c772, v8
	v_fma_f32 v8, 0xbf3bfb3b, v29, -v8
	v_fmamk_f32 v29, v3, 0xbeae86e6, v33
	v_fma_f32 v33, 0x3eae86e6, v3, -v35
	v_fmamk_f32 v3, v6, 0xbf955555, v1
	s_delay_alu instid0(VALU_DEP_3) | instskip(NEXT) | instid1(VALU_DEP_3)
	v_dual_add_f32 v6, v30, v2 :: v_dual_fmac_f32 v29, 0xbee1c552, v27
	v_fmac_f32_e32 v33, 0xbee1c552, v27
	s_delay_alu instid0(VALU_DEP_3) | instskip(SKIP_2) | instid1(VALU_DEP_3)
	v_add_f32_e32 v13, v9, v3
	v_add_f32_e32 v9, v7, v2
	;; [unrolled: 1-line block ×3, first 2 shown]
	v_dual_add_f32 v14, v8, v3 :: v_dual_sub_f32 v1, v13, v28
	s_delay_alu instid0(VALU_DEP_2) | instskip(SKIP_1) | instid1(VALU_DEP_1)
	v_dual_sub_f32 v8, v9, v33 :: v_dual_add_f32 v5, v10, v7
	v_fma_f32 v12, 0x3eae86e6, v12, -v34
	v_dual_sub_f32 v7, v7, v10 :: v_dual_fmac_f32 v12, 0xbee1c552, v11
	v_dual_add_f32 v11, v4, v2 :: v_dual_add_f32 v2, v33, v9
	v_sub_f32_e32 v4, v6, v32
	s_delay_alu instid0(VALU_DEP_3) | instskip(NEXT) | instid1(VALU_DEP_3)
	v_dual_add_f32 v6, v32, v6 :: v_dual_sub_f32 v3, v14, v12
	v_dual_add_f32 v0, v29, v11 :: v_dual_add_f32 v9, v12, v14
	v_sub_f32_e32 v10, v11, v29
	v_add_f32_e32 v11, v28, v13
	s_clause 0x5
	global_store_b64 v[15:16], v[0:1], off
	global_store_b64 v[17:18], v[2:3], off
	;; [unrolled: 1-line block ×6, first 2 shown]
.LBB0_20:
	s_nop 0
	s_sendmsg sendmsg(MSG_DEALLOC_VGPRS)
	s_endpgm
	.section	.rodata,"a",@progbits
	.p2align	6, 0x0
	.amdhsa_kernel fft_rtc_back_len1008_factors_2_2_2_2_3_3_7_wgs_56_tpt_56_halfLds_sp_op_CI_CI_sbrr_dirReg
		.amdhsa_group_segment_fixed_size 0
		.amdhsa_private_segment_fixed_size 0
		.amdhsa_kernarg_size 104
		.amdhsa_user_sgpr_count 2
		.amdhsa_user_sgpr_dispatch_ptr 0
		.amdhsa_user_sgpr_queue_ptr 0
		.amdhsa_user_sgpr_kernarg_segment_ptr 1
		.amdhsa_user_sgpr_dispatch_id 0
		.amdhsa_user_sgpr_private_segment_size 0
		.amdhsa_wavefront_size32 1
		.amdhsa_uses_dynamic_stack 0
		.amdhsa_enable_private_segment 0
		.amdhsa_system_sgpr_workgroup_id_x 1
		.amdhsa_system_sgpr_workgroup_id_y 0
		.amdhsa_system_sgpr_workgroup_id_z 0
		.amdhsa_system_sgpr_workgroup_info 0
		.amdhsa_system_vgpr_workitem_id 0
		.amdhsa_next_free_vgpr 110
		.amdhsa_next_free_sgpr 43
		.amdhsa_reserve_vcc 1
		.amdhsa_float_round_mode_32 0
		.amdhsa_float_round_mode_16_64 0
		.amdhsa_float_denorm_mode_32 3
		.amdhsa_float_denorm_mode_16_64 3
		.amdhsa_fp16_overflow 0
		.amdhsa_workgroup_processor_mode 1
		.amdhsa_memory_ordered 1
		.amdhsa_forward_progress 0
		.amdhsa_round_robin_scheduling 0
		.amdhsa_exception_fp_ieee_invalid_op 0
		.amdhsa_exception_fp_denorm_src 0
		.amdhsa_exception_fp_ieee_div_zero 0
		.amdhsa_exception_fp_ieee_overflow 0
		.amdhsa_exception_fp_ieee_underflow 0
		.amdhsa_exception_fp_ieee_inexact 0
		.amdhsa_exception_int_div_zero 0
	.end_amdhsa_kernel
	.text
.Lfunc_end0:
	.size	fft_rtc_back_len1008_factors_2_2_2_2_3_3_7_wgs_56_tpt_56_halfLds_sp_op_CI_CI_sbrr_dirReg, .Lfunc_end0-fft_rtc_back_len1008_factors_2_2_2_2_3_3_7_wgs_56_tpt_56_halfLds_sp_op_CI_CI_sbrr_dirReg
                                        ; -- End function
	.section	.AMDGPU.csdata,"",@progbits
; Kernel info:
; codeLenInByte = 14324
; NumSgprs: 45
; NumVgprs: 110
; ScratchSize: 0
; MemoryBound: 0
; FloatMode: 240
; IeeeMode: 1
; LDSByteSize: 0 bytes/workgroup (compile time only)
; SGPRBlocks: 5
; VGPRBlocks: 13
; NumSGPRsForWavesPerEU: 45
; NumVGPRsForWavesPerEU: 110
; Occupancy: 12
; WaveLimiterHint : 1
; COMPUTE_PGM_RSRC2:SCRATCH_EN: 0
; COMPUTE_PGM_RSRC2:USER_SGPR: 2
; COMPUTE_PGM_RSRC2:TRAP_HANDLER: 0
; COMPUTE_PGM_RSRC2:TGID_X_EN: 1
; COMPUTE_PGM_RSRC2:TGID_Y_EN: 0
; COMPUTE_PGM_RSRC2:TGID_Z_EN: 0
; COMPUTE_PGM_RSRC2:TIDIG_COMP_CNT: 0
	.text
	.p2alignl 7, 3214868480
	.fill 96, 4, 3214868480
	.type	__hip_cuid_d869238f5d1c2b3e,@object ; @__hip_cuid_d869238f5d1c2b3e
	.section	.bss,"aw",@nobits
	.globl	__hip_cuid_d869238f5d1c2b3e
__hip_cuid_d869238f5d1c2b3e:
	.byte	0                               ; 0x0
	.size	__hip_cuid_d869238f5d1c2b3e, 1

	.ident	"AMD clang version 19.0.0git (https://github.com/RadeonOpenCompute/llvm-project roc-6.4.0 25133 c7fe45cf4b819c5991fe208aaa96edf142730f1d)"
	.section	".note.GNU-stack","",@progbits
	.addrsig
	.addrsig_sym __hip_cuid_d869238f5d1c2b3e
	.amdgpu_metadata
---
amdhsa.kernels:
  - .args:
      - .actual_access:  read_only
        .address_space:  global
        .offset:         0
        .size:           8
        .value_kind:     global_buffer
      - .offset:         8
        .size:           8
        .value_kind:     by_value
      - .actual_access:  read_only
        .address_space:  global
        .offset:         16
        .size:           8
        .value_kind:     global_buffer
      - .actual_access:  read_only
        .address_space:  global
        .offset:         24
        .size:           8
        .value_kind:     global_buffer
      - .actual_access:  read_only
        .address_space:  global
        .offset:         32
        .size:           8
        .value_kind:     global_buffer
      - .offset:         40
        .size:           8
        .value_kind:     by_value
      - .actual_access:  read_only
        .address_space:  global
        .offset:         48
        .size:           8
        .value_kind:     global_buffer
      - .actual_access:  read_only
        .address_space:  global
        .offset:         56
        .size:           8
        .value_kind:     global_buffer
      - .offset:         64
        .size:           4
        .value_kind:     by_value
      - .actual_access:  read_only
        .address_space:  global
        .offset:         72
        .size:           8
        .value_kind:     global_buffer
      - .actual_access:  read_only
        .address_space:  global
        .offset:         80
        .size:           8
        .value_kind:     global_buffer
      - .actual_access:  read_only
        .address_space:  global
        .offset:         88
        .size:           8
        .value_kind:     global_buffer
      - .actual_access:  write_only
        .address_space:  global
        .offset:         96
        .size:           8
        .value_kind:     global_buffer
    .group_segment_fixed_size: 0
    .kernarg_segment_align: 8
    .kernarg_segment_size: 104
    .language:       OpenCL C
    .language_version:
      - 2
      - 0
    .max_flat_workgroup_size: 56
    .name:           fft_rtc_back_len1008_factors_2_2_2_2_3_3_7_wgs_56_tpt_56_halfLds_sp_op_CI_CI_sbrr_dirReg
    .private_segment_fixed_size: 0
    .sgpr_count:     45
    .sgpr_spill_count: 0
    .symbol:         fft_rtc_back_len1008_factors_2_2_2_2_3_3_7_wgs_56_tpt_56_halfLds_sp_op_CI_CI_sbrr_dirReg.kd
    .uniform_work_group_size: 1
    .uses_dynamic_stack: false
    .vgpr_count:     110
    .vgpr_spill_count: 0
    .wavefront_size: 32
    .workgroup_processor_mode: 1
amdhsa.target:   amdgcn-amd-amdhsa--gfx1201
amdhsa.version:
  - 1
  - 2
...

	.end_amdgpu_metadata
